;; amdgpu-corpus repo=ROCm/rocFFT kind=compiled arch=gfx906 opt=O3
	.text
	.amdgcn_target "amdgcn-amd-amdhsa--gfx906"
	.amdhsa_code_object_version 6
	.protected	bluestein_single_back_len952_dim1_dp_op_CI_CI ; -- Begin function bluestein_single_back_len952_dim1_dp_op_CI_CI
	.globl	bluestein_single_back_len952_dim1_dp_op_CI_CI
	.p2align	8
	.type	bluestein_single_back_len952_dim1_dp_op_CI_CI,@function
bluestein_single_back_len952_dim1_dp_op_CI_CI: ; @bluestein_single_back_len952_dim1_dp_op_CI_CI
; %bb.0:
	s_mov_b64 s[66:67], s[2:3]
	v_mul_u32_u24_e32 v1, 0x3c4, v0
	s_mov_b64 s[64:65], s[0:1]
	s_load_dwordx4 s[0:3], s[4:5], 0x28
	v_lshrrev_b32_e32 v1, 16, v1
	s_add_u32 s64, s64, s7
	v_mad_u64_u32 v[3:4], s[6:7], s6, 3, v[1:2]
	v_mov_b32_e32 v4, 0
	s_addc_u32 s65, s65, 0
	s_waitcnt lgkmcnt(0)
	v_cmp_gt_u64_e32 vcc, s[0:1], v[3:4]
	s_and_saveexec_b64 s[0:1], vcc
	s_cbranch_execz .LBB0_23
; %bb.1:
	s_mov_b32 s0, 0xaaaaaaab
	v_mul_hi_u32 v2, v3, s0
	v_mul_lo_u16_e32 v1, 0x44, v1
	s_load_dwordx2 s[12:13], s[4:5], 0x0
	s_load_dwordx2 s[14:15], s[4:5], 0x38
	v_sub_u16_e32 v178, v0, v1
	v_lshrrev_b32_e32 v0, 1, v2
	v_lshl_add_u32 v0, v0, 1, v0
	v_sub_u32_e32 v0, v3, v0
	v_mov_b32_e32 v1, v3
	v_mul_u32_u24_e32 v232, 0x3b8, v0
	v_lshlrev_b32_e32 v0, 4, v178
	buffer_store_dword v1, off, s[64:67], 0 offset:12 ; 4-byte Folded Spill
	s_nop 0
	buffer_store_dword v2, off, s[64:67], 0 offset:16 ; 4-byte Folded Spill
	v_cmp_gt_u16_e32 vcc, 56, v178
	buffer_store_dword v0, off, s[64:67], 0 offset:4 ; 4-byte Folded Spill
	v_lshlrev_b32_e32 v0, 4, v232
	buffer_store_dword v0, off, s[64:67], 0 offset:8 ; 4-byte Folded Spill
	s_and_saveexec_b64 s[6:7], vcc
	s_cbranch_execz .LBB0_3
; %bb.2:
	s_load_dwordx2 s[0:1], s[4:5], 0x18
	v_lshlrev_b32_e32 v140, 4, v178
	s_waitcnt lgkmcnt(0)
	v_mov_b32_e32 v26, s13
	v_or_b32_e32 v68, 0x1c0, v178
	v_mov_b32_e32 v69, 0x700
	s_load_dwordx4 s[8:11], s[0:1], 0x0
	buffer_load_dword v0, off, s[64:67], 0 offset:12 ; 4-byte Folded Reload
	buffer_load_dword v1, off, s[64:67], 0 offset:16 ; 4-byte Folded Reload
	v_or_b32_e32 v134, 0x380, v178
	s_waitcnt lgkmcnt(0)
	v_mad_u64_u32 v[2:3], s[0:1], s8, v178, 0
	s_waitcnt vmcnt(1)
	v_mov_b32_e32 v4, v0
	s_waitcnt vmcnt(0)
	v_mad_u64_u32 v[0:1], s[0:1], s10, v4, 0
	s_mul_hi_u32 s10, s8, 0x380
	v_mad_u64_u32 v[4:5], s[0:1], s11, v4, v[1:2]
	v_mad_u64_u32 v[5:6], s[0:1], s9, v178, v[3:4]
	v_mov_b32_e32 v1, v4
	v_lshlrev_b64 v[0:1], 4, v[0:1]
	v_mov_b32_e32 v3, v5
	v_mov_b32_e32 v6, s3
	v_lshlrev_b64 v[2:3], 4, v[2:3]
	v_add_co_u32_e64 v16, s[0:1], s2, v0
	v_addc_co_u32_e64 v17, s[0:1], v6, v1, s[0:1]
	v_add_co_u32_e64 v34, s[0:1], v16, v2
	v_addc_co_u32_e64 v35, s[0:1], v17, v3, s[0:1]
	v_add_co_u32_e64 v120, s[0:1], s12, v140
	s_movk_i32 s2, 0x1000
	v_addc_co_u32_e64 v121, s[0:1], 0, v26, s[0:1]
	v_add_co_u32_e64 v82, s[0:1], s2, v120
	v_addc_co_u32_e64 v83, s[0:1], 0, v121, s[0:1]
	v_mad_u64_u32 v[36:37], s[0:1], s8, v68, 0
	s_mul_i32 s3, s9, 0x380
	s_mul_i32 s2, s8, 0x380
	v_mad_u64_u32 v[37:38], s[0:1], s9, v68, v[37:38]
	s_add_i32 s3, s10, s3
	v_mov_b32_e32 v39, s3
	v_lshlrev_b64 v[36:37], 4, v[36:37]
	v_mov_b32_e32 v44, s3
	v_add_co_u32_e64 v36, s[0:1], v16, v36
	v_addc_co_u32_e64 v37, s[0:1], v17, v37, s[0:1]
	v_add_co_u32_e64 v41, s[0:1], s2, v34
	v_addc_co_u32_e64 v42, s[0:1], v35, v39, s[0:1]
	;; [unrolled: 2-line block ×3, first 2 shown]
	v_mov_b32_e32 v45, s3
	v_add_co_u32_e64 v49, s[0:1], s2, v43
	global_load_dwordx4 v[0:3], v140, s[12:13]
	global_load_dwordx4 v[4:7], v[34:35], off
	v_addc_co_u32_e64 v50, s[0:1], v44, v45, s[0:1]
	v_mov_b32_e32 v51, s3
	v_add_co_u32_e64 v53, s[0:1], s2, v49
	v_addc_co_u32_e64 v54, s[0:1], v50, v51, s[0:1]
	v_mov_b32_e32 v55, s3
	v_add_co_u32_e64 v57, s[0:1], s2, v53
	;; [unrolled: 3-line block ×4, first 2 shown]
	v_addc_co_u32_e64 v67, s[0:1], v62, v63, s[0:1]
	v_mad_u64_u32 v[84:85], s[0:1], s8, v69, v[66:67]
	s_mul_i32 s0, s9, 0x700
	global_load_dwordx4 v[8:11], v140, s[12:13] offset:896
	global_load_dwordx4 v[12:15], v140, s[12:13] offset:1792
	;; [unrolled: 1-line block ×4, first 2 shown]
	global_load_dwordx4 v[26:29], v[82:83], off offset:384
	global_load_dwordx4 v[30:33], v[82:83], off offset:1280
	v_add_u32_e32 v85, s0, v85
	global_load_dwordx4 v[34:37], v[36:37], off
	v_add_co_u32_e64 v86, s[0:1], s2, v84
	global_load_dwordx4 v[38:41], v[41:42], off
	v_mov_b32_e32 v88, s3
	global_load_dwordx4 v[42:45], v[43:44], off
	v_mov_b32_e32 v100, s3
	;; [unrolled: 2-line block ×3, first 2 shown]
	global_load_dwordx4 v[50:53], v[53:54], off
	s_waitcnt vmcnt(11)
	v_mul_f64 v[138:139], v[6:7], v[2:3]
	global_load_dwordx4 v[54:57], v[57:58], off
	s_nop 0
	global_load_dwordx4 v[58:61], v[61:62], off
	s_nop 0
	global_load_dwordx4 v[62:65], v[66:67], off
	v_lshlrev_b32_e32 v66, 4, v68
	global_load_dwordx4 v[66:69], v66, s[12:13]
	s_nop 0
	global_load_dwordx4 v[70:73], v[84:85], off
	global_load_dwordx4 v[74:77], v[82:83], off offset:2176
	global_load_dwordx4 v[78:81], v[82:83], off offset:3968
	v_mov_b32_e32 v82, s3
	v_addc_co_u32_e64 v87, s[0:1], v85, v82, s[0:1]
	s_movk_i32 s0, 0x2000
	v_add_co_u32_e64 v114, s[0:1], s0, v120
	v_addc_co_u32_e64 v115, s[0:1], 0, v121, s[0:1]
	v_add_co_u32_e64 v98, s[0:1], s2, v86
	v_addc_co_u32_e64 v99, s[0:1], v87, v88, s[0:1]
	;; [unrolled: 2-line block ×4, first 2 shown]
	global_load_dwordx4 v[82:85], v[86:87], off
	s_nop 0
	global_load_dwordx4 v[86:89], v[98:99], off
	global_load_dwordx4 v[90:93], v[114:115], off offset:768
	global_load_dwordx4 v[94:97], v[114:115], off offset:1664
	v_add_co_u32_e64 v118, s[0:1], s2, v116
	global_load_dwordx4 v[98:101], v[102:103], off
	s_nop 0
	global_load_dwordx4 v[102:105], v[116:117], off
	global_load_dwordx4 v[106:109], v[114:115], off offset:2560
	global_load_dwordx4 v[110:113], v[114:115], off offset:3456
	v_mov_b32_e32 v114, s3
	v_addc_co_u32_e64 v119, s[0:1], v117, v114, s[0:1]
	s_movk_i32 s0, 0x3000
	v_add_co_u32_e64 v126, s[0:1], s0, v120
	v_addc_co_u32_e64 v127, s[0:1], 0, v121, s[0:1]
	v_mad_u64_u32 v[130:131], s[0:1], s8, v134, 0
	global_load_dwordx4 v[114:117], v[118:119], off
	v_mov_b32_e32 v120, s3
	v_add_co_u32_e64 v118, s[0:1], s2, v118
	v_addc_co_u32_e64 v119, s[0:1], v119, v120, s[0:1]
	v_mov_b32_e32 v120, v131
	v_mad_u64_u32 v[131:132], s[0:1], s9, v134, v[120:121]
	global_load_dwordx4 v[118:121], v[118:119], off
	s_nop 0
	global_load_dwordx4 v[122:125], v[126:127], off offset:256
	s_nop 0
	global_load_dwordx4 v[126:129], v[126:127], off offset:1152
	v_lshlrev_b64 v[130:131], 4, v[130:131]
	v_add_co_u32_e64 v16, s[0:1], v16, v130
	v_addc_co_u32_e64 v17, s[0:1], v17, v131, s[0:1]
	global_load_dwordx4 v[130:133], v[16:17], off
	v_lshlrev_b32_e32 v16, 4, v134
	global_load_dwordx4 v[134:137], v16, s[12:13]
	v_mul_f64 v[16:17], v[4:5], v[2:3]
	v_fma_f64 v[2:3], v[4:5], v[0:1], v[138:139]
	v_lshlrev_b32_e32 v138, 4, v232
	v_fma_f64 v[4:5], v[6:7], v[0:1], -v[16:17]
	v_lshl_add_u32 v6, v178, 4, v138
	s_waitcnt vmcnt(24)
	v_mul_f64 v[0:1], v[40:41], v[10:11]
	s_waitcnt vmcnt(21)
	v_mul_f64 v[16:17], v[52:53], v[24:25]
	v_add_u32_e32 v138, v138, v140
	ds_write_b128 v6, v[2:5]
	v_mul_f64 v[2:3], v[38:39], v[10:11]
	v_mul_f64 v[4:5], v[44:45], v[14:15]
	;; [unrolled: 1-line block ×6, first 2 shown]
	v_fma_f64 v[0:1], v[38:39], v[8:9], v[0:1]
	s_waitcnt vmcnt(15)
	v_mul_f64 v[24:25], v[64:65], v[76:77]
	v_fma_f64 v[2:3], v[40:41], v[8:9], -v[2:3]
	v_fma_f64 v[4:5], v[42:43], v[12:13], v[4:5]
	v_fma_f64 v[6:7], v[44:45], v[12:13], -v[6:7]
	v_fma_f64 v[8:9], v[46:47], v[18:19], v[10:11]
	;; [unrolled: 2-line block ×3, first 2 shown]
	v_mul_f64 v[16:17], v[56:57], v[28:29]
	v_mul_f64 v[18:19], v[54:55], v[28:29]
	v_fma_f64 v[14:15], v[52:53], v[22:23], -v[20:21]
	v_mul_f64 v[20:21], v[60:61], v[32:33]
	v_mul_f64 v[22:23], v[58:59], v[32:33]
	;; [unrolled: 1-line block ×5, first 2 shown]
	v_fma_f64 v[16:17], v[54:55], v[26:27], v[16:17]
	v_fma_f64 v[18:19], v[56:57], v[26:27], -v[18:19]
	v_fma_f64 v[24:25], v[62:63], v[74:75], v[24:25]
	v_fma_f64 v[20:21], v[58:59], v[30:31], v[20:21]
	v_fma_f64 v[22:23], v[60:61], v[30:31], -v[22:23]
	v_fma_f64 v[26:27], v[64:65], v[74:75], -v[28:29]
	v_fma_f64 v[28:29], v[34:35], v[66:67], v[32:33]
	v_fma_f64 v[30:31], v[36:37], v[66:67], -v[38:39]
	ds_write_b128 v138, v[0:3] offset:896
	ds_write_b128 v138, v[4:7] offset:1792
	;; [unrolled: 1-line block ×8, first 2 shown]
	s_waitcnt vmcnt(14)
	v_mul_f64 v[0:1], v[72:73], v[80:81]
	v_mul_f64 v[2:3], v[70:71], v[80:81]
	s_waitcnt vmcnt(11)
	v_mul_f64 v[4:5], v[84:85], v[92:93]
	v_mul_f64 v[6:7], v[82:83], v[92:93]
	;; [unrolled: 3-line block ×5, first 2 shown]
	v_fma_f64 v[0:1], v[70:71], v[78:79], v[0:1]
	v_fma_f64 v[2:3], v[72:73], v[78:79], -v[2:3]
	v_fma_f64 v[4:5], v[82:83], v[90:91], v[4:5]
	v_fma_f64 v[6:7], v[84:85], v[90:91], -v[6:7]
	;; [unrolled: 2-line block ×5, first 2 shown]
	s_waitcnt vmcnt(3)
	v_mul_f64 v[20:21], v[116:117], v[124:125]
	v_mul_f64 v[22:23], v[114:115], v[124:125]
	s_waitcnt vmcnt(2)
	v_mul_f64 v[24:25], v[120:121], v[128:129]
	v_mul_f64 v[26:27], v[118:119], v[128:129]
	v_fma_f64 v[20:21], v[114:115], v[122:123], v[20:21]
	v_fma_f64 v[22:23], v[116:117], v[122:123], -v[22:23]
	v_fma_f64 v[24:25], v[118:119], v[126:127], v[24:25]
	s_waitcnt vmcnt(0)
	v_mul_f64 v[28:29], v[132:133], v[136:137]
	v_mul_f64 v[30:31], v[130:131], v[136:137]
	v_fma_f64 v[26:27], v[120:121], v[126:127], -v[26:27]
	v_fma_f64 v[28:29], v[130:131], v[134:135], v[28:29]
	v_fma_f64 v[30:31], v[132:133], v[134:135], -v[30:31]
	ds_write_b128 v138, v[0:3] offset:8064
	ds_write_b128 v138, v[4:7] offset:8960
	ds_write_b128 v138, v[8:11] offset:9856
	ds_write_b128 v138, v[12:15] offset:10752
	ds_write_b128 v138, v[16:19] offset:11648
	ds_write_b128 v138, v[20:23] offset:12544
	ds_write_b128 v138, v[24:27] offset:13440
	ds_write_b128 v138, v[28:31] offset:14336
.LBB0_3:
	s_or_b64 exec, exec, s[6:7]
	s_waitcnt vmcnt(0) lgkmcnt(0)
	s_barrier
	s_waitcnt lgkmcnt(0)
                                        ; implicit-def: $vgpr4_vgpr5
                                        ; implicit-def: $vgpr76_vgpr77
                                        ; implicit-def: $vgpr72_vgpr73
                                        ; implicit-def: $vgpr8_vgpr9
                                        ; implicit-def: $vgpr12_vgpr13
                                        ; implicit-def: $vgpr16_vgpr17
                                        ; implicit-def: $vgpr20_vgpr21
                                        ; implicit-def: $vgpr36_vgpr37
                                        ; implicit-def: $vgpr44_vgpr45
                                        ; implicit-def: $vgpr40_vgpr41
                                        ; implicit-def: $vgpr32_vgpr33
                                        ; implicit-def: $vgpr28_vgpr29
                                        ; implicit-def: $vgpr24_vgpr25
                                        ; implicit-def: $vgpr48_vgpr49
                                        ; implicit-def: $vgpr68_vgpr69
                                        ; implicit-def: $vgpr84_vgpr85
                                        ; implicit-def: $vgpr80_vgpr81
	s_and_saveexec_b64 s[0:1], vcc
	s_cbranch_execz .LBB0_5
; %bb.4:
	v_lshlrev_b32_e32 v0, 4, v178
	v_lshl_add_u32 v0, v232, 4, v0
	ds_read_b128 v[4:7], v0
	ds_read_b128 v[80:83], v0 offset:896
	ds_read_b128 v[84:87], v0 offset:1792
	ds_read_b128 v[76:79], v0 offset:2688
	ds_read_b128 v[72:75], v0 offset:3584
	ds_read_b128 v[68:71], v0 offset:4480
	ds_read_b128 v[48:51], v0 offset:5376
	ds_read_b128 v[8:11], v0 offset:6272
	ds_read_b128 v[12:15], v0 offset:7168
	ds_read_b128 v[24:27], v0 offset:8064
	ds_read_b128 v[28:31], v0 offset:8960
	ds_read_b128 v[16:19], v0 offset:9856
	ds_read_b128 v[20:23], v0 offset:10752
	ds_read_b128 v[32:35], v0 offset:11648
	ds_read_b128 v[40:43], v0 offset:12544
	ds_read_b128 v[36:39], v0 offset:13440
	ds_read_b128 v[44:47], v0 offset:14336
.LBB0_5:
	s_or_b64 exec, exec, s[0:1]
	s_waitcnt lgkmcnt(1)
	v_add_f64 v[224:225], v[84:85], -v[36:37]
	s_mov_b32 s34, 0x6c9a05f6
	s_mov_b32 s35, 0xbfe9895b
	s_waitcnt lgkmcnt(0)
	v_add_f64 v[214:215], v[82:83], -v[46:47]
	v_add_f64 v[196:197], v[80:81], -v[44:45]
	s_mov_b32 s28, 0x2a9d6da3
	s_mov_b32 s30, 0x7c9e640b
	;; [unrolled: 1-line block ×3, first 2 shown]
	v_mul_f64 v[90:91], v[224:225], s[34:35]
	s_mov_b32 s31, 0xbfeca52d
	v_add_f64 v[102:103], v[44:45], v[80:81]
	v_add_f64 v[104:105], v[46:47], v[82:83]
	v_mul_f64 v[181:182], v[196:197], s[28:29]
	v_mul_f64 v[189:190], v[214:215], s[30:31]
	;; [unrolled: 1-line block ×3, first 2 shown]
	v_add_f64 v[233:234], v[86:87], -v[38:39]
	buffer_store_dword v90, off, s[64:67], 0 offset:36 ; 4-byte Folded Spill
	s_nop 0
	buffer_store_dword v91, off, s[64:67], 0 offset:40 ; 4-byte Folded Spill
	s_mov_b32 s16, 0x75d4884
	s_mov_b32 s2, 0x2b2883cd
	;; [unrolled: 1-line block ×6, first 2 shown]
	v_fma_f64 v[54:55], v[104:105], s[16:17], -v[181:182]
	v_fma_f64 v[56:57], v[102:103], s[2:3], v[189:190]
	v_fma_f64 v[58:59], v[104:105], s[2:3], -v[202:203]
	v_add_f64 v[122:123], v[36:37], v[84:85]
	v_add_f64 v[126:127], v[38:39], v[86:87]
	v_mul_f64 v[204:205], v[224:225], s[36:37]
	v_mul_f64 v[226:227], v[233:234], s[34:35]
	s_mov_b32 s10, 0x3259b75e
	s_mov_b32 s20, 0x6ed5f1bb
	;; [unrolled: 1-line block ×4, first 2 shown]
	v_add_f64 v[54:55], v[6:7], v[54:55]
	v_add_f64 v[56:57], v[4:5], v[56:57]
	;; [unrolled: 1-line block ×3, first 2 shown]
	v_fma_f64 v[66:67], v[126:127], s[10:11], -v[204:205]
	v_fma_f64 v[88:89], v[122:123], s[20:21], v[226:227]
	v_add_f64 v[237:238], v[78:79], -v[42:43]
	v_add_f64 v[235:236], v[76:77], -v[40:41]
	s_mov_b32 s38, 0xacd6c6b4
	s_mov_b32 s39, 0xbfc7851a
	s_mov_b32 s45, 0x3fc7851a
	s_mov_b32 s44, s38
	v_add_f64 v[54:55], v[66:67], v[54:55]
	v_add_f64 v[56:57], v[88:89], v[56:57]
	v_mul_f64 v[88:89], v[237:238], s[44:45]
	v_mul_f64 v[66:67], v[235:236], s[34:35]
	buffer_store_dword v66, off, s[64:67], 0 offset:76 ; 4-byte Folded Spill
	s_nop 0
	buffer_store_dword v67, off, s[64:67], 0 offset:80 ; 4-byte Folded Spill
	buffer_store_dword v88, off, s[64:67], 0 offset:92 ; 4-byte Folded Spill
	s_nop 0
	buffer_store_dword v89, off, s[64:67], 0 offset:96 ; 4-byte Folded Spill
	s_mov_b32 s26, 0x5d8e7cdc
	s_mov_b32 s27, 0xbfd71e95
	v_mul_f64 v[92:93], v[214:215], s[26:27]
	s_mov_b32 s0, 0x370991
	s_mov_b32 s1, 0x3fedd6d0
	v_mul_f64 v[94:95], v[196:197], s[26:27]
	v_mul_f64 v[179:180], v[214:215], s[28:29]
	;; [unrolled: 1-line block ×5, first 2 shown]
	v_fma_f64 v[0:1], v[102:103], s[0:1], v[92:93]
	v_add_f64 v[142:143], v[76:77], v[40:41]
	v_mul_f64 v[208:209], v[237:238], s[30:31]
	v_fma_f64 v[2:3], v[104:105], s[0:1], -v[94:95]
	v_fma_f64 v[52:53], v[102:103], s[16:17], v[179:180]
	v_fma_f64 v[60:61], v[122:123], s[16:17], v[183:184]
	v_fma_f64 v[62:63], v[126:127], s[16:17], -v[185:186]
	v_fma_f64 v[64:65], v[122:123], s[10:11], v[187:188]
	v_add_f64 v[0:1], v[4:5], v[0:1]
	v_add_f64 v[144:145], v[78:79], v[42:43]
	v_mul_f64 v[212:213], v[235:236], s[30:31]
	v_add_f64 v[2:3], v[6:7], v[2:3]
	v_add_f64 v[52:53], v[4:5], v[52:53]
	v_mul_f64 v[216:217], v[237:238], s[34:35]
	s_mov_b32 s24, 0x7faef3
	s_mov_b32 s25, 0xbfef7484
	v_add_f64 v[0:1], v[60:61], v[0:1]
	v_fma_f64 v[60:61], v[142:143], s[2:3], v[208:209]
	v_add_f64 v[106:107], v[74:75], -v[34:35]
	v_add_f64 v[2:3], v[62:63], v[2:3]
	v_add_f64 v[52:53], v[64:65], v[52:53]
	v_fma_f64 v[62:63], v[144:145], s[2:3], -v[212:213]
	v_fma_f64 v[64:65], v[142:143], s[20:21], v[216:217]
	v_add_f64 v[239:240], v[72:73], -v[32:33]
	s_mov_b32 s40, 0x923c349f
	v_add_f64 v[0:1], v[60:61], v[0:1]
	s_mov_b32 s41, 0xbfeec746
	v_fma_f64 v[90:91], v[126:127], s[20:21], -v[90:91]
	s_mov_b32 s43, 0x3feec746
	s_mov_b32 s42, s40
	v_add_f64 v[2:3], v[62:63], v[2:3]
	v_add_f64 v[52:53], v[64:65], v[52:53]
	v_mul_f64 v[62:63], v[239:240], s[36:37]
	v_mul_f64 v[64:65], v[106:107], s[38:39]
	v_add_f64 v[156:157], v[72:73], v[32:33]
	v_add_f64 v[58:59], v[90:91], v[58:59]
	v_mul_f64 v[90:91], v[235:236], s[44:45]
	v_mul_f64 v[228:229], v[106:107], s[36:37]
	v_add_f64 v[160:161], v[74:75], v[34:35]
	v_add_f64 v[124:125], v[70:71], -v[22:23]
	s_mov_b32 s18, 0xc61f0d01
	s_mov_b32 s19, 0xbfd183b1
	v_add_f64 v[100:101], v[68:69], -v[20:21]
	buffer_store_dword v90, off, s[64:67], 0 offset:172 ; 4-byte Folded Spill
	s_nop 0
	buffer_store_dword v91, off, s[64:67], 0 offset:176 ; 4-byte Folded Spill
	buffer_store_dword v62, off, s[64:67], 0 offset:44 ; 4-byte Folded Spill
	s_nop 0
	buffer_store_dword v63, off, s[64:67], 0 offset:48 ; 4-byte Folded Spill
	;; [unrolled: 3-line block ×3, first 2 shown]
	s_mov_b32 s46, 0x4363dd80
	s_mov_b32 s47, 0x3fe0d888
	v_add_f64 v[172:173], v[20:21], v[68:69]
	v_mul_f64 v[96:97], v[100:101], s[40:41]
	v_mul_f64 v[98:99], v[124:125], s[46:47]
	s_mov_b32 s49, 0x3fe58eea
	s_mov_b32 s48, s28
	v_add_f64 v[174:175], v[22:23], v[70:71]
	s_mov_b32 s22, 0x910ea3b9
	s_mov_b32 s23, 0xbfeb34fa
	v_add_f64 v[152:153], v[50:51], -v[18:19]
	v_add_f64 v[120:121], v[48:49], -v[16:17]
	v_add_f64 v[192:193], v[16:17], v[48:49]
	v_add_f64 v[168:169], v[10:11], -v[30:31]
	s_mov_b32 s53, 0xbfe0d888
	s_mov_b32 s52, s46
	v_add_f64 v[194:195], v[18:19], v[50:51]
	v_add_f64 v[148:149], v[8:9], -v[28:29]
	v_add_f64 v[206:207], v[8:9], v[28:29]
	v_mul_f64 v[108:109], v[120:121], s[26:27]
	v_fma_f64 v[60:61], v[144:145], s[20:21], -v[66:67]
	v_fma_f64 v[66:67], v[142:143], s[24:25], v[88:89]
	s_mov_b32 s55, 0x3feca52d
	s_mov_b32 s54, s30
	v_add_f64 v[210:211], v[10:11], v[30:31]
	v_add_f64 v[176:177], v[14:15], -v[26:27]
	v_add_f64 v[170:171], v[12:13], -v[24:25]
	s_mov_b32 s51, 0x3fd71e95
	v_add_f64 v[54:55], v[60:61], v[54:55]
	v_add_f64 v[56:57], v[66:67], v[56:57]
	v_mul_f64 v[66:67], v[239:240], s[38:39]
	buffer_store_dword v66, off, s[64:67], 0 offset:156 ; 4-byte Folded Spill
	s_nop 0
	buffer_store_dword v67, off, s[64:67], 0 offset:160 ; 4-byte Folded Spill
	v_fma_f64 v[60:61], v[156:157], s[10:11], v[228:229]
	s_mov_b32 s50, s26
	v_add_f64 v[222:223], v[14:15], v[26:27]
	v_mul_f64 v[230:231], v[148:149], s[36:37]
	v_add_f64 v[220:221], v[12:13], v[24:25]
	v_mul_f64 v[218:219], v[214:215], s[36:37]
	v_mul_f64 v[241:242], v[233:234], s[38:39]
	;; [unrolled: 1-line block ×3, first 2 shown]
	v_add_f64 v[0:1], v[60:61], v[0:1]
	v_mul_f64 v[249:250], v[237:238], s[42:43]
	v_mul_f64 v[110:111], v[235:236], s[42:43]
	;; [unrolled: 1-line block ×6, first 2 shown]
	s_mov_b32 s59, 0x3fe9895b
	s_mov_b32 s58, s34
	v_mul_f64 v[251:252], v[168:169], s[58:59]
	v_mul_f64 v[116:117], v[148:149], s[58:59]
	;; [unrolled: 1-line block ×12, first 2 shown]
	s_mov_b32 s57, 0x3fefdd0d
	s_mov_b32 s56, s36
	v_mul_f64 v[134:135], v[152:153], s[56:57]
	v_mul_f64 v[162:163], v[120:121], s[56:57]
	;; [unrolled: 1-line block ×6, first 2 shown]
	v_fma_f64 v[88:89], v[144:145], s[24:25], -v[90:91]
	v_mul_f64 v[90:91], v[239:240], s[42:43]
	v_fma_f64 v[60:61], v[160:161], s[10:11], -v[62:63]
	v_fma_f64 v[62:63], v[156:157], s[24:25], v[64:65]
	v_add_f64 v[58:59], v[88:89], v[58:59]
	v_mul_f64 v[88:89], v[106:107], s[42:43]
	v_add_f64 v[2:3], v[60:61], v[2:3]
	v_add_f64 v[52:53], v[62:63], v[52:53]
	buffer_store_dword v88, off, s[64:67], 0 offset:228 ; 4-byte Folded Spill
	s_nop 0
	buffer_store_dword v89, off, s[64:67], 0 offset:232 ; 4-byte Folded Spill
	buffer_store_dword v90, off, s[64:67], 0 offset:268 ; 4-byte Folded Spill
	s_nop 0
	buffer_store_dword v91, off, s[64:67], 0 offset:272 ; 4-byte Folded Spill
	v_fma_f64 v[64:65], v[160:161], s[24:25], -v[66:67]
	v_add_f64 v[54:55], v[64:65], v[54:55]
	v_fma_f64 v[66:67], v[156:157], s[18:19], v[88:89]
	v_fma_f64 v[88:89], v[160:161], s[18:19], -v[90:91]
	v_mul_f64 v[90:91], v[124:125], s[40:41]
	buffer_store_dword v90, off, s[64:67], 0 offset:108 ; 4-byte Folded Spill
	s_nop 0
	buffer_store_dword v91, off, s[64:67], 0 offset:112 ; 4-byte Folded Spill
	v_add_f64 v[56:57], v[66:67], v[56:57]
	v_add_f64 v[58:59], v[88:89], v[58:59]
	buffer_store_dword v96, off, s[64:67], 0 offset:124 ; 4-byte Folded Spill
	s_nop 0
	buffer_store_dword v97, off, s[64:67], 0 offset:128 ; 4-byte Folded Spill
	buffer_store_dword v98, off, s[64:67], 0 offset:140 ; 4-byte Folded Spill
	s_nop 0
	buffer_store_dword v99, off, s[64:67], 0 offset:144 ; 4-byte Folded Spill
	v_mul_f64 v[66:67], v[100:101], s[46:47]
	v_mul_f64 v[88:89], v[124:125], s[48:49]
	buffer_store_dword v66, off, s[64:67], 0 offset:244 ; 4-byte Folded Spill
	s_nop 0
	buffer_store_dword v67, off, s[64:67], 0 offset:248 ; 4-byte Folded Spill
	buffer_store_dword v88, off, s[64:67], 0 offset:260 ; 4-byte Folded Spill
	s_nop 0
	buffer_store_dword v89, off, s[64:67], 0 offset:264 ; 4-byte Folded Spill
	v_fma_f64 v[60:61], v[172:173], s[18:19], v[90:91]
	v_mul_f64 v[90:91], v[100:101], s[48:49]
	buffer_store_dword v90, off, s[64:67], 0 offset:332 ; 4-byte Folded Spill
	s_nop 0
	buffer_store_dword v91, off, s[64:67], 0 offset:336 ; 4-byte Folded Spill
	v_fma_f64 v[62:63], v[174:175], s[18:19], -v[96:97]
	v_fma_f64 v[64:65], v[172:173], s[22:23], v[98:99]
	v_add_f64 v[0:1], v[60:61], v[0:1]
	v_fma_f64 v[60:61], v[174:175], s[22:23], -v[66:67]
	v_mul_f64 v[66:67], v[152:153], s[34:35]
	buffer_store_dword v66, off, s[64:67], 0 offset:188 ; 4-byte Folded Spill
	s_nop 0
	buffer_store_dword v67, off, s[64:67], 0 offset:192 ; 4-byte Folded Spill
	v_add_f64 v[2:3], v[62:63], v[2:3]
	v_add_f64 v[52:53], v[64:65], v[52:53]
	v_fma_f64 v[62:63], v[172:173], s[16:17], v[88:89]
	v_mul_f64 v[88:89], v[120:121], s[34:35]
	buffer_store_dword v88, off, s[64:67], 0 offset:204 ; 4-byte Folded Spill
	s_nop 0
	buffer_store_dword v89, off, s[64:67], 0 offset:208 ; 4-byte Folded Spill
	v_mul_f64 v[96:97], v[120:121], s[42:43]
	v_mul_f64 v[98:99], v[152:153], s[26:27]
	v_add_f64 v[54:55], v[60:61], v[54:55]
	v_add_f64 v[56:57], v[62:63], v[56:57]
	v_fma_f64 v[64:65], v[174:175], s[16:17], -v[90:91]
	v_mul_f64 v[90:91], v[152:153], s[42:43]
	buffer_store_dword v90, off, s[64:67], 0 offset:220 ; 4-byte Folded Spill
	s_nop 0
	buffer_store_dword v91, off, s[64:67], 0 offset:224 ; 4-byte Folded Spill
	v_add_f64 v[58:59], v[64:65], v[58:59]
	buffer_store_dword v96, off, s[64:67], 0 offset:316 ; 4-byte Folded Spill
	s_nop 0
	buffer_store_dword v97, off, s[64:67], 0 offset:320 ; 4-byte Folded Spill
	buffer_store_dword v98, off, s[64:67], 0 offset:324 ; 4-byte Folded Spill
	s_nop 0
	buffer_store_dword v99, off, s[64:67], 0 offset:328 ; 4-byte Folded Spill
	;; [unrolled: 3-line block ×3, first 2 shown]
	v_fma_f64 v[60:61], v[192:193], s[20:21], v[66:67]
	v_add_f64 v[0:1], v[60:61], v[0:1]
	v_fma_f64 v[62:63], v[194:195], s[20:21], -v[88:89]
	v_add_f64 v[2:3], v[62:63], v[2:3]
	v_fma_f64 v[64:65], v[192:193], s[18:19], v[90:91]
	v_mul_f64 v[90:91], v[168:169], s[52:53]
	buffer_store_dword v90, off, s[64:67], 0 offset:284 ; 4-byte Folded Spill
	s_nop 0
	buffer_store_dword v91, off, s[64:67], 0 offset:288 ; 4-byte Folded Spill
	v_fma_f64 v[66:67], v[194:195], s[18:19], -v[96:97]
	v_fma_f64 v[88:89], v[192:193], s[0:1], v[98:99]
	v_mul_f64 v[96:97], v[148:149], s[52:53]
	buffer_store_dword v96, off, s[64:67], 0 offset:300 ; 4-byte Folded Spill
	s_nop 0
	buffer_store_dword v97, off, s[64:67], 0 offset:304 ; 4-byte Folded Spill
	v_add_f64 v[54:55], v[66:67], v[54:55]
	v_add_f64 v[56:57], v[88:89], v[56:57]
	v_mul_f64 v[66:67], v[168:169], s[54:55]
	v_mul_f64 v[88:89], v[168:169], s[36:37]
	buffer_store_dword v66, off, s[64:67], 0 offset:308 ; 4-byte Folded Spill
	s_nop 0
	buffer_store_dword v67, off, s[64:67], 0 offset:312 ; 4-byte Folded Spill
	v_add_f64 v[52:53], v[64:65], v[52:53]
	v_fma_f64 v[60:61], v[194:195], s[0:1], -v[108:109]
	v_mul_f64 v[98:99], v[170:171], s[52:53]
	v_mul_f64 v[108:109], v[239:240], s[50:51]
	v_add_f64 v[58:59], v[60:61], v[58:59]
	v_fma_f64 v[62:63], v[206:207], s[22:23], v[90:91]
	v_mul_f64 v[90:91], v[148:149], s[54:55]
	buffer_store_dword v90, off, s[64:67], 0 offset:396 ; 4-byte Folded Spill
	s_nop 0
	buffer_store_dword v91, off, s[64:67], 0 offset:400 ; 4-byte Folded Spill
	buffer_store_dword v88, off, s[64:67], 0 offset:380 ; 4-byte Folded Spill
	s_nop 0
	buffer_store_dword v89, off, s[64:67], 0 offset:384 ; 4-byte Folded Spill
	v_fma_f64 v[64:65], v[210:211], s[22:23], -v[96:97]
	v_add_f64 v[0:1], v[62:63], v[0:1]
	v_mul_f64 v[96:97], v[170:171], s[50:51]
	v_add_f64 v[2:3], v[64:65], v[2:3]
	v_fma_f64 v[60:61], v[206:207], s[2:3], v[66:67]
	v_mul_f64 v[66:67], v[176:177], s[38:39]
	buffer_store_dword v66, off, s[64:67], 0 offset:348 ; 4-byte Folded Spill
	s_nop 0
	buffer_store_dword v67, off, s[64:67], 0 offset:352 ; 4-byte Folded Spill
	v_add_f64 v[52:53], v[60:61], v[52:53]
	v_fma_f64 v[60:61], v[210:211], s[10:11], -v[230:231]
	v_fma_f64 v[62:63], v[210:211], s[2:3], -v[90:91]
	v_fma_f64 v[64:65], v[206:207], s[10:11], v[88:89]
	v_mul_f64 v[88:89], v[170:171], s[38:39]
	v_mul_f64 v[90:91], v[176:177], s[50:51]
	buffer_store_dword v88, off, s[64:67], 0 offset:364 ; 4-byte Folded Spill
	s_nop 0
	buffer_store_dword v89, off, s[64:67], 0 offset:368 ; 4-byte Folded Spill
	buffer_store_dword v90, off, s[64:67], 0 offset:388 ; 4-byte Folded Spill
	s_nop 0
	buffer_store_dword v91, off, s[64:67], 0 offset:392 ; 4-byte Folded Spill
	buffer_store_dword v96, off, s[64:67], 0 offset:412 ; 4-byte Folded Spill
	s_nop 0
	buffer_store_dword v97, off, s[64:67], 0 offset:416 ; 4-byte Folded Spill
	v_add_f64 v[54:55], v[62:63], v[54:55]
	v_add_f64 v[62:63], v[64:65], v[56:57]
	v_fma_f64 v[56:57], v[220:221], s[24:25], v[66:67]
	v_add_f64 v[198:199], v[56:57], v[0:1]
	v_fma_f64 v[64:65], v[222:223], s[24:25], -v[88:89]
	v_fma_f64 v[66:67], v[220:221], s[0:1], v[90:91]
	v_fma_f64 v[88:89], v[222:223], s[0:1], -v[96:97]
	v_mul_f64 v[96:97], v[176:177], s[52:53]
	buffer_store_dword v96, off, s[64:67], 0 offset:420 ; 4-byte Folded Spill
	s_nop 0
	buffer_store_dword v97, off, s[64:67], 0 offset:424 ; 4-byte Folded Spill
	buffer_store_dword v98, off, s[64:67], 0 offset:428 ; 4-byte Folded Spill
	s_nop 0
	buffer_store_dword v99, off, s[64:67], 0 offset:432 ; 4-byte Folded Spill
	v_add_f64 v[90:91], v[60:61], v[58:59]
	v_fma_f64 v[60:61], v[102:103], s[10:11], v[218:219]
	v_add_f64 v[200:201], v[64:65], v[2:3]
	v_add_f64 v[56:57], v[66:67], v[52:53]
	;; [unrolled: 1-line block ×3, first 2 shown]
	s_load_dwordx2 s[6:7], s[4:5], 0x20
	s_load_dwordx2 s[8:9], s[4:5], 0x8
	s_waitcnt vmcnt(0) lgkmcnt(0)
	s_barrier
	v_add_f64 v[52:53], v[4:5], v[60:61]
	v_fma_f64 v[0:1], v[220:221], s[22:23], v[96:97]
	v_fma_f64 v[2:3], v[222:223], s[22:23], -v[98:99]
	v_mul_f64 v[98:99], v[224:225], s[38:39]
	v_mul_f64 v[96:97], v[152:153], s[52:53]
	v_add_f64 v[60:61], v[0:1], v[62:63]
	v_add_f64 v[62:63], v[2:3], v[90:91]
	v_fma_f64 v[0:1], v[122:123], s[24:25], v[241:242]
	v_fma_f64 v[2:3], v[104:105], s[10:11], -v[243:244]
	v_add_f64 v[0:1], v[0:1], v[52:53]
	v_add_f64 v[2:3], v[6:7], v[2:3]
	v_fma_f64 v[52:53], v[126:127], s[24:25], -v[98:99]
	v_add_f64 v[2:3], v[52:53], v[2:3]
	v_fma_f64 v[52:53], v[142:143], s[18:19], v[249:250]
	v_add_f64 v[0:1], v[52:53], v[0:1]
	v_fma_f64 v[52:53], v[144:145], s[18:19], -v[110:111]
	v_add_f64 v[2:3], v[52:53], v[2:3]
	v_fma_f64 v[52:53], v[156:157], s[0:1], v[245:246]
	;; [unrolled: 4-line block ×6, first 2 shown]
	v_add_f64 v[64:65], v[52:53], v[0:1]
	v_fma_f64 v[0:1], v[222:223], s[16:17], -v[118:119]
	v_fma_f64 v[52:53], v[126:127], s[22:23], -v[146:147]
	v_add_f64 v[66:67], v[0:1], v[2:3]
	v_fma_f64 v[0:1], v[102:103], s[18:19], v[128:129]
	v_fma_f64 v[2:3], v[122:123], s[22:23], v[130:131]
	v_add_f64 v[0:1], v[4:5], v[0:1]
	v_add_f64 v[0:1], v[2:3], v[0:1]
	v_fma_f64 v[2:3], v[104:105], s[18:19], -v[140:141]
	v_add_f64 v[2:3], v[6:7], v[2:3]
	v_add_f64 v[52:53], v[52:53], v[2:3]
	v_mul_f64 v[2:3], v[237:238], s[48:49]
	v_fma_f64 v[54:55], v[142:143], s[16:17], v[2:3]
	v_add_f64 v[54:55], v[54:55], v[0:1]
	v_fma_f64 v[0:1], v[144:145], s[16:17], -v[154:155]
	v_add_f64 v[52:53], v[0:1], v[52:53]
	v_mul_f64 v[0:1], v[106:107], s[30:31]
	v_fma_f64 v[88:89], v[156:157], s[2:3], v[0:1]
	v_add_f64 v[54:55], v[88:89], v[54:55]
	v_fma_f64 v[88:89], v[160:161], s[2:3], -v[150:151]
	v_add_f64 v[52:53], v[88:89], v[52:53]
	v_fma_f64 v[88:89], v[172:173], s[24:25], v[132:133]
	v_add_f64 v[54:55], v[88:89], v[54:55]
	v_fma_f64 v[88:89], v[174:175], s[24:25], -v[158:159]
	v_add_f64 v[52:53], v[88:89], v[52:53]
	v_fma_f64 v[88:89], v[192:193], s[10:11], v[134:135]
	v_add_f64 v[54:55], v[88:89], v[54:55]
	v_fma_f64 v[88:89], v[194:195], s[10:11], -v[162:163]
	v_add_f64 v[52:53], v[88:89], v[52:53]
	v_fma_f64 v[88:89], v[206:207], s[0:1], v[136:137]
	v_add_f64 v[54:55], v[88:89], v[54:55]
	v_fma_f64 v[88:89], v[210:211], s[0:1], -v[164:165]
	v_add_f64 v[88:89], v[88:89], v[52:53]
	v_fma_f64 v[52:53], v[220:221], s[20:21], v[138:139]
	v_add_f64 v[52:53], v[52:53], v[54:55]
	v_fma_f64 v[54:55], v[222:223], s[20:21], -v[166:167]
	v_add_f64 v[54:55], v[54:55], v[88:89]
	s_mov_b64 s[4:5], exec
	s_and_b64 s[60:61], s[4:5], vcc
	buffer_store_dword v178, off, s[64:67], 0 ; 4-byte Folded Spill
	s_mov_b64 exec, s[60:61]
	s_cbranch_execz .LBB0_7
; %bb.6:
	buffer_store_dword v92, off, s[64:67], 0 offset:452 ; 4-byte Folded Spill
	s_nop 0
	buffer_store_dword v93, off, s[64:67], 0 offset:456 ; 4-byte Folded Spill
	v_mul_f64 v[92:93], v[104:105], s[24:25]
	buffer_store_dword v94, off, s[64:67], 0 offset:460 ; 4-byte Folded Spill
	s_nop 0
	buffer_store_dword v95, off, s[64:67], 0 offset:464 ; 4-byte Folded Spill
	v_mul_f64 v[94:95], v[126:127], s[0:1]
	;; [unrolled: 4-line block ×4, first 2 shown]
	buffer_store_dword v183, off, s[64:67], 0 offset:476 ; 4-byte Folded Spill
	s_nop 0
	buffer_store_dword v184, off, s[64:67], 0 offset:480 ; 4-byte Folded Spill
	v_fma_f64 v[88:89], v[196:197], s[44:45], v[92:93]
	buffer_store_dword v185, off, s[64:67], 0 offset:484 ; 4-byte Folded Spill
	s_nop 0
	buffer_store_dword v186, off, s[64:67], 0 offset:488 ; 4-byte Folded Spill
	v_fma_f64 v[90:91], v[224:225], s[26:27], v[94:95]
	buffer_store_dword v187, off, s[64:67], 0 offset:492 ; 4-byte Folded Spill
	s_nop 0
	buffer_store_dword v188, off, s[64:67], 0 offset:496 ; 4-byte Folded Spill
	buffer_store_dword v189, off, s[64:67], 0 offset:532 ; 4-byte Folded Spill
	s_nop 0
	buffer_store_dword v190, off, s[64:67], 0 offset:536 ; 4-byte Folded Spill
	v_fma_f64 v[92:93], v[196:197], s[38:39], v[92:93]
	v_fma_f64 v[182:183], v[122:123], s[0:1], v[180:181]
	;; [unrolled: 1-line block ×3, first 2 shown]
	v_add_f64 v[88:89], v[6:7], v[88:89]
	buffer_store_dword v198, off, s[64:67], 0 offset:20 ; 4-byte Folded Spill
	s_nop 0
	buffer_store_dword v199, off, s[64:67], 0 offset:24 ; 4-byte Folded Spill
	buffer_store_dword v200, off, s[64:67], 0 offset:28 ; 4-byte Folded Spill
	;; [unrolled: 1-line block ×4, first 2 shown]
	s_nop 0
	buffer_store_dword v203, off, s[64:67], 0 offset:552 ; 4-byte Folded Spill
	buffer_store_dword v204, off, s[64:67], 0 offset:540 ; 4-byte Folded Spill
	s_nop 0
	buffer_store_dword v205, off, s[64:67], 0 offset:544 ; 4-byte Folded Spill
	buffer_store_dword v208, off, s[64:67], 0 offset:500 ; 4-byte Folded Spill
	s_nop 0
	buffer_store_dword v209, off, s[64:67], 0 offset:504 ; 4-byte Folded Spill
	v_add_f64 v[92:93], v[6:7], v[92:93]
	buffer_store_dword v212, off, s[64:67], 0 offset:508 ; 4-byte Folded Spill
	s_nop 0
	buffer_store_dword v213, off, s[64:67], 0 offset:512 ; 4-byte Folded Spill
	buffer_store_dword v216, off, s[64:67], 0 offset:516 ; 4-byte Folded Spill
	s_nop 0
	buffer_store_dword v217, off, s[64:67], 0 offset:520 ; 4-byte Folded Spill
	v_add_f64 v[88:89], v[90:91], v[88:89]
	v_fma_f64 v[90:91], v[102:103], s[24:25], v[178:179]
	buffer_store_dword v218, off, s[64:67], 0 offset:556 ; 4-byte Folded Spill
	s_nop 0
	buffer_store_dword v219, off, s[64:67], 0 offset:560 ; 4-byte Folded Spill
	v_mul_f64 v[216:217], v[222:223], s[10:11]
	v_mul_f64 v[218:219], v[176:177], s[56:57]
	v_add_f64 v[92:93], v[94:95], v[92:93]
	v_fma_f64 v[94:95], v[102:103], s[24:25], -v[178:179]
	v_fma_f64 v[178:179], v[122:123], s[0:1], -v[180:181]
	v_add_f64 v[80:81], v[4:5], v[80:81]
	v_add_f64 v[90:91], v[4:5], v[90:91]
	;; [unrolled: 1-line block ×3, first 2 shown]
	v_fma_f64 v[180:181], v[220:221], s[10:11], -v[218:219]
	v_add_f64 v[94:95], v[4:5], v[94:95]
	v_add_f64 v[84:85], v[84:85], v[80:81]
	;; [unrolled: 1-line block ×3, first 2 shown]
	v_mul_f64 v[182:183], v[144:145], s[22:23]
	v_add_f64 v[86:87], v[86:87], v[82:83]
	v_add_f64 v[94:95], v[178:179], v[94:95]
	;; [unrolled: 1-line block ×3, first 2 shown]
	v_fma_f64 v[184:185], v[235:236], s[46:47], v[182:183]
	v_fma_f64 v[178:179], v[235:236], s[52:53], v[182:183]
	v_mul_f64 v[182:183], v[144:145], s[10:11]
	v_add_f64 v[86:87], v[78:79], v[86:87]
	v_add_f64 v[84:85], v[72:73], v[84:85]
	;; [unrolled: 1-line block ×3, first 2 shown]
	v_mul_f64 v[184:185], v[237:238], s[52:53]
	v_add_f64 v[92:93], v[178:179], v[92:93]
	v_add_f64 v[86:87], v[74:75], v[86:87]
	;; [unrolled: 1-line block ×3, first 2 shown]
	v_fma_f64 v[186:187], v[142:143], s[22:23], v[184:185]
	v_fma_f64 v[178:179], v[142:143], s[22:23], -v[184:185]
	v_mul_f64 v[184:185], v[160:161], s[20:21]
	v_add_f64 v[86:87], v[70:71], v[86:87]
	v_add_f64 v[84:85], v[48:49], v[84:85]
	v_mul_f64 v[48:49], v[144:145], s[16:17]
	v_add_f64 v[90:91], v[186:187], v[90:91]
	v_mul_f64 v[186:187], v[160:161], s[16:17]
	v_add_f64 v[94:95], v[178:179], v[94:95]
	v_add_f64 v[50:51], v[50:51], v[86:87]
	v_mul_f64 v[86:87], v[104:105], s[18:19]
	v_add_f64 v[8:9], v[8:9], v[84:85]
	v_add_f64 v[48:49], v[154:155], v[48:49]
	v_mul_f64 v[154:155], v[174:175], s[22:23]
	v_fma_f64 v[188:189], v[239:240], s[28:29], v[186:187]
	v_fma_f64 v[178:179], v[239:240], s[48:49], v[186:187]
	v_mul_f64 v[186:187], v[174:175], s[0:1]
	v_add_f64 v[86:87], v[140:141], v[86:87]
	v_mul_f64 v[140:141], v[144:145], s[20:21]
	v_add_f64 v[10:11], v[10:11], v[50:51]
	v_add_f64 v[8:9], v[12:13], v[8:9]
	;; [unrolled: 1-line block ×3, first 2 shown]
	v_mul_f64 v[188:189], v[106:107], s[48:49]
	v_add_f64 v[92:93], v[178:179], v[92:93]
	v_add_f64 v[86:87], v[6:7], v[86:87]
	;; [unrolled: 1-line block ×4, first 2 shown]
	v_fma_f64 v[190:191], v[156:157], s[16:17], v[188:189]
	v_fma_f64 v[178:179], v[156:157], s[16:17], -v[188:189]
	v_mul_f64 v[188:189], v[194:195], s[24:25]
	v_add_f64 v[10:11], v[26:27], v[10:11]
	v_add_f64 v[8:9], v[28:29], v[8:9]
	;; [unrolled: 1-line block ×3, first 2 shown]
	v_mul_f64 v[190:191], v[174:175], s[20:21]
	v_add_f64 v[94:95], v[178:179], v[94:95]
	v_add_f64 v[10:11], v[30:31], v[10:11]
	;; [unrolled: 1-line block ×3, first 2 shown]
	v_fma_f64 v[198:199], v[100:101], s[58:59], v[190:191]
	v_fma_f64 v[178:179], v[100:101], s[34:35], v[190:191]
	v_mul_f64 v[190:191], v[210:211], s[16:17]
	v_add_f64 v[10:11], v[18:19], v[10:11]
	v_add_f64 v[8:9], v[20:21], v[8:9]
	;; [unrolled: 1-line block ×3, first 2 shown]
	v_mul_f64 v[198:199], v[124:125], s[34:35]
	v_add_f64 v[92:93], v[178:179], v[92:93]
	v_add_f64 v[10:11], v[22:23], v[10:11]
	;; [unrolled: 1-line block ×3, first 2 shown]
	v_fma_f64 v[200:201], v[172:173], s[20:21], v[198:199]
	v_fma_f64 v[178:179], v[172:173], s[20:21], -v[198:199]
	v_mul_f64 v[198:199], v[214:215], s[52:53]
	v_add_f64 v[10:11], v[34:35], v[10:11]
	v_add_f64 v[8:9], v[40:41], v[8:9]
	;; [unrolled: 1-line block ×3, first 2 shown]
	v_mul_f64 v[200:201], v[194:195], s[2:3]
	v_add_f64 v[94:95], v[178:179], v[94:95]
	v_add_f64 v[10:11], v[42:43], v[10:11]
	;; [unrolled: 1-line block ×3, first 2 shown]
	v_fma_f64 v[202:203], v[120:121], s[30:31], v[200:201]
	v_fma_f64 v[178:179], v[120:121], s[54:55], v[200:201]
	v_mul_f64 v[200:201], v[233:234], s[54:55]
	v_add_f64 v[88:89], v[202:203], v[88:89]
	v_mul_f64 v[202:203], v[152:153], s[54:55]
	v_add_f64 v[92:93], v[178:179], v[92:93]
	v_fma_f64 v[204:205], v[192:193], s[2:3], v[202:203]
	v_add_f64 v[90:91], v[204:205], v[90:91]
	v_mul_f64 v[204:205], v[210:211], s[18:19]
	v_fma_f64 v[208:209], v[148:149], s[42:43], v[204:205]
	v_fma_f64 v[178:179], v[148:149], s[40:41], v[204:205]
	v_add_f64 v[88:89], v[208:209], v[88:89]
	v_mul_f64 v[208:209], v[168:169], s[40:41]
	v_add_f64 v[92:93], v[178:179], v[92:93]
	v_fma_f64 v[178:179], v[192:193], s[2:3], -v[202:203]
	v_fma_f64 v[202:203], v[122:123], s[2:3], v[200:201]
	v_fma_f64 v[212:213], v[206:207], s[18:19], v[208:209]
	v_add_f64 v[94:95], v[178:179], v[94:95]
	v_fma_f64 v[178:179], v[206:207], s[18:19], -v[208:209]
	v_add_f64 v[212:213], v[212:213], v[90:91]
	v_fma_f64 v[90:91], v[170:171], s[36:37], v[216:217]
	v_add_f64 v[178:179], v[178:179], v[94:95]
	v_fma_f64 v[94:95], v[170:171], s[56:57], v[216:217]
	;; [unrolled: 2-line block ×3, first 2 shown]
	v_add_f64 v[94:95], v[94:95], v[92:93]
	v_add_f64 v[92:93], v[180:181], v[178:179]
	v_mul_f64 v[178:179], v[104:105], s[22:23]
	v_mul_f64 v[180:181], v[126:127], s[2:3]
	v_add_f64 v[88:89], v[88:89], v[212:213]
	buffer_store_dword v88, off, s[64:67], 0 offset:436 ; 4-byte Folded Spill
	s_nop 0
	buffer_store_dword v89, off, s[64:67], 0 offset:440 ; 4-byte Folded Spill
	buffer_store_dword v90, off, s[64:67], 0 offset:444 ; 4-byte Folded Spill
	;; [unrolled: 1-line block ×3, first 2 shown]
	v_fma_f64 v[80:81], v[196:197], s[46:47], v[178:179]
	v_fma_f64 v[82:83], v[224:225], s[30:31], v[180:181]
	;; [unrolled: 1-line block ×4, first 2 shown]
	v_fma_f64 v[178:179], v[122:123], s[2:3], -v[200:201]
	v_mov_b32_e32 v88, v226
	v_mov_b32_e32 v90, v228
	;; [unrolled: 1-line block ×3, first 2 shown]
	v_add_f64 v[80:81], v[6:7], v[80:81]
	v_mul_f64 v[226:227], v[222:223], s[18:19]
	v_add_f64 v[76:77], v[6:7], v[76:77]
	v_mov_b32_e32 v91, v229
	v_mul_f64 v[228:229], v[176:177], s[40:41]
	v_mul_f64 v[200:201], v[233:234], s[42:43]
	;; [unrolled: 1-line block ×3, first 2 shown]
	v_add_f64 v[80:81], v[82:83], v[80:81]
	v_fma_f64 v[82:83], v[235:236], s[56:57], v[182:183]
	v_add_f64 v[76:77], v[78:79], v[76:77]
	v_fma_f64 v[78:79], v[235:236], s[36:37], v[182:183]
	v_fma_f64 v[180:181], v[220:221], s[18:19], -v[228:229]
	v_mul_f64 v[182:183], v[144:145], s[0:1]
	v_add_f64 v[80:81], v[82:83], v[80:81]
	v_fma_f64 v[82:83], v[239:240], s[34:35], v[184:185]
	v_add_f64 v[76:77], v[78:79], v[76:77]
	v_fma_f64 v[78:79], v[239:240], s[58:59], v[184:185]
	v_mul_f64 v[184:185], v[160:161], s[22:23]
	v_fma_f64 v[70:71], v[235:236], s[26:27], v[182:183]
	v_add_f64 v[80:81], v[82:83], v[80:81]
	v_fma_f64 v[82:83], v[100:101], s[50:51], v[186:187]
	v_add_f64 v[76:77], v[78:79], v[76:77]
	v_fma_f64 v[78:79], v[100:101], s[26:27], v[186:187]
	v_mul_f64 v[186:187], v[174:175], s[10:11]
	v_add_f64 v[80:81], v[82:83], v[80:81]
	v_fma_f64 v[82:83], v[120:121], s[44:45], v[188:189]
	v_add_f64 v[76:77], v[78:79], v[76:77]
	v_fma_f64 v[78:79], v[120:121], s[38:39], v[188:189]
	v_mul_f64 v[188:189], v[194:195], s[16:17]
	v_add_f64 v[80:81], v[82:83], v[80:81]
	v_fma_f64 v[82:83], v[148:149], s[28:29], v[190:191]
	v_add_f64 v[76:77], v[78:79], v[76:77]
	v_fma_f64 v[78:79], v[148:149], s[48:49], v[190:191]
	v_mul_f64 v[190:191], v[210:211], s[24:25]
	v_add_f64 v[80:81], v[82:83], v[80:81]
	v_fma_f64 v[82:83], v[102:103], s[22:23], v[198:199]
	v_add_f64 v[76:77], v[78:79], v[76:77]
	v_fma_f64 v[78:79], v[102:103], s[22:23], -v[198:199]
	v_mul_f64 v[198:199], v[214:215], s[34:35]
	v_add_f64 v[82:83], v[4:5], v[82:83]
	v_add_f64 v[78:79], v[4:5], v[78:79]
	;; [unrolled: 1-line block ×3, first 2 shown]
	v_mul_f64 v[202:203], v[237:238], s[36:37]
	v_add_f64 v[78:79], v[178:179], v[78:79]
	v_fma_f64 v[204:205], v[142:143], s[10:11], v[202:203]
	v_fma_f64 v[178:179], v[142:143], s[10:11], -v[202:203]
	v_fma_f64 v[202:203], v[122:123], s[18:19], v[200:201]
	v_add_f64 v[82:83], v[204:205], v[82:83]
	v_mul_f64 v[204:205], v[106:107], s[58:59]
	v_add_f64 v[78:79], v[178:179], v[78:79]
	v_mul_f64 v[106:107], v[106:107], s[52:53]
	v_fma_f64 v[208:209], v[156:157], s[20:21], v[204:205]
	v_fma_f64 v[178:179], v[156:157], s[20:21], -v[204:205]
	v_add_f64 v[82:83], v[208:209], v[82:83]
	v_mul_f64 v[208:209], v[124:125], s[26:27]
	v_add_f64 v[78:79], v[178:179], v[78:79]
	v_mul_f64 v[124:125], v[124:125], s[56:57]
	v_fma_f64 v[212:213], v[172:173], s[0:1], v[208:209]
	v_fma_f64 v[178:179], v[172:173], s[0:1], -v[208:209]
	v_mul_f64 v[208:209], v[222:223], s[2:3]
	v_add_f64 v[82:83], v[212:213], v[82:83]
	v_mul_f64 v[212:213], v[152:153], s[38:39]
	v_add_f64 v[78:79], v[178:179], v[78:79]
	v_mul_f64 v[152:153], v[152:153], s[28:29]
	v_fma_f64 v[216:217], v[192:193], s[24:25], v[212:213]
	v_fma_f64 v[178:179], v[192:193], s[24:25], -v[212:213]
	v_add_f64 v[82:83], v[216:217], v[82:83]
	v_mul_f64 v[216:217], v[168:169], s[48:49]
	v_add_f64 v[78:79], v[178:179], v[78:79]
	v_mul_f64 v[168:169], v[168:169], s[38:39]
	v_fma_f64 v[178:179], v[206:207], s[16:17], -v[216:217]
	v_fma_f64 v[218:219], v[206:207], s[16:17], v[216:217]
	v_add_f64 v[178:179], v[178:179], v[78:79]
	v_fma_f64 v[78:79], v[170:171], s[40:41], v[226:227]
	v_add_f64 v[218:219], v[218:219], v[82:83]
	v_fma_f64 v[82:83], v[170:171], s[42:43], v[226:227]
	v_add_f64 v[78:79], v[78:79], v[76:77]
	v_add_f64 v[76:77], v[180:181], v[178:179]
	v_mul_f64 v[178:179], v[104:105], s[20:21]
	v_mul_f64 v[180:181], v[126:127], s[18:19]
	v_add_f64 v[82:83], v[82:83], v[80:81]
	v_fma_f64 v[80:81], v[220:221], s[18:19], v[228:229]
	v_fma_f64 v[72:73], v[196:197], s[58:59], v[178:179]
	;; [unrolled: 1-line block ×5, first 2 shown]
	v_add_f64 v[80:81], v[80:81], v[218:219]
	v_add_f64 v[72:73], v[6:7], v[72:73]
	v_add_f64 v[68:69], v[6:7], v[68:69]
	v_add_f64 v[72:73], v[74:75], v[72:73]
	v_fma_f64 v[74:75], v[235:236], s[50:51], v[182:183]
	v_add_f64 v[68:69], v[178:179], v[68:69]
	v_fma_f64 v[178:179], v[239:240], s[52:53], v[184:185]
	v_add_f64 v[72:73], v[74:75], v[72:73]
	;; [unrolled: 2-line block ×5, first 2 shown]
	v_fma_f64 v[100:101], v[120:121], s[28:29], v[188:189]
	buffer_load_dword v178, off, s[64:67], 0 ; 4-byte Folded Reload
	v_add_f64 v[72:73], v[74:75], v[72:73]
	v_fma_f64 v[74:75], v[120:121], s[48:49], v[188:189]
	v_add_f64 v[68:69], v[70:71], v[68:69]
	v_fma_f64 v[70:71], v[148:149], s[38:39], v[190:191]
	v_fma_f64 v[120:121], v[122:123], s[18:19], -v[200:201]
	v_add_f64 v[72:73], v[74:75], v[72:73]
	v_fma_f64 v[74:75], v[148:149], s[44:45], v[190:191]
	v_add_f64 v[68:69], v[100:101], v[68:69]
	v_fma_f64 v[100:101], v[170:171], s[54:55], v[208:209]
	v_mul_f64 v[148:149], v[160:161], s[24:25]
	v_add_f64 v[72:73], v[74:75], v[72:73]
	v_fma_f64 v[74:75], v[102:103], s[20:21], v[198:199]
	v_add_f64 v[68:69], v[70:71], v[68:69]
	v_fma_f64 v[70:71], v[102:103], s[20:21], -v[198:199]
	buffer_load_dword v198, off, s[64:67], 0 offset:20 ; 4-byte Folded Reload
	buffer_load_dword v199, off, s[64:67], 0 offset:24 ; 4-byte Folded Reload
	;; [unrolled: 1-line block ×4, first 2 shown]
	v_add_f64 v[74:75], v[4:5], v[74:75]
	v_add_f64 v[70:71], v[4:5], v[70:71]
	;; [unrolled: 1-line block ×3, first 2 shown]
	v_mul_f64 v[202:203], v[237:238], s[26:27]
	v_add_f64 v[70:71], v[120:121], v[70:71]
	v_fma_f64 v[204:205], v[142:143], s[0:1], v[202:203]
	v_fma_f64 v[120:121], v[142:143], s[0:1], -v[202:203]
	v_add_f64 v[74:75], v[204:205], v[74:75]
	v_fma_f64 v[204:205], v[156:157], s[22:23], v[106:107]
	v_add_f64 v[70:71], v[120:121], v[70:71]
	v_fma_f64 v[106:107], v[156:157], s[22:23], -v[106:107]
	v_fma_f64 v[120:121], v[220:221], s[2:3], -v[176:177]
	v_add_f64 v[74:75], v[204:205], v[74:75]
	v_fma_f64 v[204:205], v[172:173], s[10:11], v[124:125]
	v_add_f64 v[70:71], v[106:107], v[70:71]
	v_fma_f64 v[106:107], v[172:173], s[10:11], -v[124:125]
	v_add_f64 v[74:75], v[204:205], v[74:75]
	v_fma_f64 v[204:205], v[192:193], s[16:17], v[152:153]
	v_add_f64 v[70:71], v[106:107], v[70:71]
	v_fma_f64 v[106:107], v[192:193], s[16:17], -v[152:153]
	v_mul_f64 v[152:153], v[172:173], s[22:23]
	v_add_f64 v[74:75], v[204:205], v[74:75]
	v_fma_f64 v[204:205], v[206:207], s[24:25], v[168:169]
	v_add_f64 v[70:71], v[106:107], v[70:71]
	v_fma_f64 v[106:107], v[206:207], s[24:25], -v[168:169]
	v_mul_f64 v[168:169], v[210:211], s[2:3]
	v_add_f64 v[204:205], v[204:205], v[74:75]
	v_fma_f64 v[74:75], v[170:171], s[30:31], v[208:209]
	v_add_f64 v[106:107], v[106:107], v[70:71]
	v_add_f64 v[70:71], v[100:101], v[68:69]
	v_mul_f64 v[100:101], v[126:127], s[22:23]
	v_mul_f64 v[170:171], v[206:207], s[10:11]
	v_add_f64 v[74:75], v[74:75], v[72:73]
	v_add_f64 v[68:69], v[120:121], v[106:107]
	v_mul_f64 v[106:107], v[122:123], s[22:23]
	v_add_f64 v[100:101], v[146:147], v[100:101]
	v_mul_f64 v[146:147], v[156:157], s[24:25]
	v_mul_f64 v[120:121], v[210:211], s[10:11]
	v_fma_f64 v[72:73], v[220:221], s[2:3], v[176:177]
	v_mul_f64 v[176:177], v[220:221], s[22:23]
	v_add_f64 v[106:107], v[106:107], -v[130:131]
	v_add_f64 v[86:87], v[100:101], v[86:87]
	v_mul_f64 v[100:101], v[160:161], s[2:3]
	v_add_f64 v[120:121], v[230:231], v[120:121]
	v_add_f64 v[72:73], v[72:73], v[204:205]
	v_add_f64 v[48:49], v[48:49], v[86:87]
	v_add_f64 v[100:101], v[150:151], v[100:101]
	v_mul_f64 v[86:87], v[174:175], s[24:25]
	v_mul_f64 v[150:151], v[172:173], s[18:19]
	v_add_f64 v[48:49], v[100:101], v[48:49]
	v_add_f64 v[86:87], v[158:159], v[86:87]
	v_mul_f64 v[100:101], v[194:195], s[10:11]
	v_mul_f64 v[158:159], v[192:193], s[18:19]
	v_add_f64 v[48:49], v[86:87], v[48:49]
	v_add_f64 v[100:101], v[162:163], v[100:101]
	;; [unrolled: 4-line block ×3, first 2 shown]
	v_mul_f64 v[100:101], v[222:223], s[20:21]
	v_mul_f64 v[164:165], v[210:211], s[22:23]
	v_add_f64 v[48:49], v[86:87], v[48:49]
	v_mul_f64 v[86:87], v[142:143], s[16:17]
	v_add_f64 v[100:101], v[166:167], v[100:101]
	v_mul_f64 v[166:167], v[206:207], s[2:3]
	v_add_f64 v[2:3], v[86:87], -v[2:3]
	v_mul_f64 v[86:87], v[102:103], s[18:19]
	v_add_f64 v[86:87], v[86:87], -v[128:129]
	v_mul_f64 v[128:129], v[122:123], s[16:17]
	v_add_f64 v[86:87], v[4:5], v[86:87]
	v_add_f64 v[86:87], v[106:107], v[86:87]
	v_mul_f64 v[106:107], v[156:157], s[2:3]
	v_add_f64 v[2:3], v[2:3], v[86:87]
	v_add_f64 v[0:1], v[106:107], -v[0:1]
	v_mul_f64 v[86:87], v[172:173], s[24:25]
	v_add_f64 v[0:1], v[0:1], v[2:3]
	v_add_f64 v[86:87], v[86:87], -v[132:133]
	;; [unrolled: 3-line block ×3, first 2 shown]
	v_mul_f64 v[86:87], v[206:207], s[0:1]
	v_add_f64 v[0:1], v[2:3], v[0:1]
	v_mul_f64 v[2:3], v[220:221], s[20:21]
	v_add_f64 v[86:87], v[86:87], -v[136:137]
	v_add_f64 v[106:107], v[2:3], -v[138:139]
	v_mul_f64 v[2:3], v[144:145], s[18:19]
	v_add_f64 v[0:1], v[86:87], v[0:1]
	v_mul_f64 v[86:87], v[104:105], s[10:11]
	v_mul_f64 v[138:139], v[142:143], s[20:21]
	v_add_f64 v[2:3], v[110:111], v[2:3]
	v_mul_f64 v[110:111], v[126:127], s[24:25]
	v_add_f64 v[86:87], v[243:244], v[86:87]
	v_add_f64 v[0:1], v[106:107], v[0:1]
	v_add_f64 v[98:99], v[98:99], v[110:111]
	buffer_load_dword v110, off, s[64:67], 0 offset:556 ; 4-byte Folded Reload
	buffer_load_dword v111, off, s[64:67], 0 offset:560 ; 4-byte Folded Reload
	v_add_f64 v[86:87], v[6:7], v[86:87]
	v_add_f64 v[86:87], v[98:99], v[86:87]
	v_mul_f64 v[98:99], v[160:161], s[0:1]
	v_add_f64 v[2:3], v[2:3], v[86:87]
	v_mul_f64 v[86:87], v[174:175], s[2:3]
	v_add_f64 v[98:99], v[108:109], v[98:99]
	v_mul_f64 v[108:109], v[102:103], s[10:11]
	v_add_f64 v[86:87], v[112:113], v[86:87]
	buffer_load_dword v112, off, s[64:67], 0 offset:548 ; 4-byte Folded Reload
	buffer_load_dword v113, off, s[64:67], 0 offset:552 ; 4-byte Folded Reload
	v_add_f64 v[2:3], v[98:99], v[2:3]
	v_mul_f64 v[98:99], v[194:195], s[22:23]
	v_add_f64 v[2:3], v[86:87], v[2:3]
	v_add_f64 v[98:99], v[114:115], v[98:99]
	buffer_load_dword v114, off, s[64:67], 0 offset:36 ; 4-byte Folded Reload
	buffer_load_dword v115, off, s[64:67], 0 offset:40 ; 4-byte Folded Reload
	v_mul_f64 v[86:87], v[210:211], s[20:21]
	v_add_f64 v[2:3], v[98:99], v[2:3]
	v_mul_f64 v[98:99], v[222:223], s[16:17]
	v_add_f64 v[86:87], v[116:117], v[86:87]
	;; [unrolled: 2-line block ×3, first 2 shown]
	v_add_f64 v[86:87], v[86:87], v[2:3]
	v_mul_f64 v[2:3], v[142:143], s[18:19]
	v_add_f64 v[116:117], v[116:117], -v[247:248]
	v_add_f64 v[2:3], v[2:3], -v[249:250]
	s_waitcnt vmcnt(4)
	v_add_f64 v[108:109], v[108:109], -v[110:111]
	v_mul_f64 v[110:111], v[122:123], s[24:25]
	v_add_f64 v[108:109], v[4:5], v[108:109]
	v_add_f64 v[110:111], v[110:111], -v[241:242]
	v_add_f64 v[108:109], v[110:111], v[108:109]
	v_mul_f64 v[110:111], v[156:157], s[0:1]
	v_add_f64 v[2:3], v[2:3], v[108:109]
	v_add_f64 v[110:111], v[110:111], -v[245:246]
	v_mul_f64 v[108:109], v[172:173], s[2:3]
	v_add_f64 v[2:3], v[110:111], v[2:3]
	v_mul_f64 v[110:111], v[104:105], s[2:3]
	v_add_f64 v[108:109], v[108:109], -v[253:254]
	s_waitcnt vmcnt(2)
	v_add_f64 v[110:111], v[112:113], v[110:111]
	v_mul_f64 v[112:113], v[192:193], s[22:23]
	v_add_f64 v[2:3], v[108:109], v[2:3]
	v_mul_f64 v[108:109], v[144:145], s[24:25]
	v_add_f64 v[110:111], v[6:7], v[110:111]
	v_add_f64 v[96:97], v[112:113], -v[96:97]
	v_mul_f64 v[112:113], v[126:127], s[20:21]
	v_add_f64 v[2:3], v[96:97], v[2:3]
	s_waitcnt vmcnt(0)
	v_add_f64 v[112:113], v[114:115], v[112:113]
	buffer_load_dword v114, off, s[64:67], 0 offset:172 ; 4-byte Folded Reload
	buffer_load_dword v115, off, s[64:67], 0 offset:176 ; 4-byte Folded Reload
	;; [unrolled: 1-line block ×14, first 2 shown]
	v_add_f64 v[110:111], v[112:113], v[110:111]
	v_mul_f64 v[112:113], v[160:161], s[18:19]
	v_mul_f64 v[96:97], v[104:105], s[0:1]
	;; [unrolled: 1-line block ×3, first 2 shown]
	s_waitcnt vmcnt(12)
	v_add_f64 v[108:109], v[114:115], v[108:109]
	s_waitcnt vmcnt(10)
	v_add_f64 v[112:113], v[118:119], v[112:113]
	v_mul_f64 v[118:119], v[174:175], s[16:17]
	v_mul_f64 v[114:115], v[206:207], s[20:21]
	s_waitcnt vmcnt(0)
	v_add_f64 v[104:105], v[136:137], v[104:105]
	v_mul_f64 v[136:137], v[144:145], s[2:3]
	v_add_f64 v[108:109], v[108:109], v[110:111]
	v_mul_f64 v[110:111], v[102:103], s[0:1]
	;; [unrolled: 2-line block ×3, first 2 shown]
	v_add_f64 v[114:115], v[114:115], -v[251:252]
	v_mul_f64 v[144:145], v[160:161], s[10:11]
	v_add_f64 v[104:105], v[6:7], v[104:105]
	v_mul_f64 v[160:161], v[194:195], s[18:19]
	v_add_f64 v[108:109], v[112:113], v[108:109]
	v_mul_f64 v[112:113], v[102:103], s[16:17]
	v_mul_f64 v[102:103], v[102:103], s[2:3]
	v_add_f64 v[124:125], v[130:131], v[124:125]
	v_mul_f64 v[130:131], v[126:127], s[16:17]
	v_mul_f64 v[126:127], v[126:127], s[10:11]
	v_add_f64 v[114:115], v[114:115], v[2:3]
	v_mul_f64 v[2:3], v[156:157], s[18:19]
	v_add_f64 v[108:109], v[118:119], v[108:109]
	v_mul_f64 v[118:119], v[122:123], s[10:11]
	v_mul_f64 v[122:123], v[122:123], s[20:21]
	v_add_f64 v[102:103], v[102:103], -v[134:135]
	v_mul_f64 v[134:135], v[142:143], s[24:25]
	v_add_f64 v[2:3], v[2:3], -v[132:133]
	v_mul_f64 v[132:133], v[142:143], s[2:3]
	v_mul_f64 v[142:143], v[156:157], s[10:11]
	v_add_f64 v[122:123], v[122:123], -v[88:89]
	buffer_load_dword v88, off, s[64:67], 0 offset:92 ; 4-byte Folded Reload
	buffer_load_dword v89, off, s[64:67], 0 offset:96 ; 4-byte Folded Reload
	v_add_f64 v[102:103], v[4:5], v[102:103]
	v_mul_f64 v[156:157], v[172:173], s[16:17]
	v_add_f64 v[108:109], v[124:125], v[108:109]
	v_mul_f64 v[172:173], v[220:221], s[0:1]
	v_mul_f64 v[124:125], v[222:223], s[22:23]
	v_add_f64 v[102:103], v[122:123], v[102:103]
	v_mul_f64 v[122:123], v[174:175], s[18:19]
	v_mul_f64 v[174:175], v[222:223], s[0:1]
	s_waitcnt vmcnt(0)
	v_add_f64 v[134:135], v[134:135], -v[88:89]
	buffer_load_dword v88, off, s[64:67], 0 offset:540 ; 4-byte Folded Reload
	buffer_load_dword v89, off, s[64:67], 0 offset:544 ; 4-byte Folded Reload
	v_add_f64 v[102:103], v[134:135], v[102:103]
	v_mul_f64 v[134:135], v[194:195], s[20:21]
	v_add_f64 v[102:103], v[2:3], v[102:103]
	s_waitcnt vmcnt(0)
	v_add_f64 v[126:127], v[88:89], v[126:127]
	buffer_load_dword v88, off, s[64:67], 0 offset:76 ; 4-byte Folded Reload
	buffer_load_dword v89, off, s[64:67], 0 offset:80 ; 4-byte Folded Reload
	v_add_f64 v[104:105], v[126:127], v[104:105]
	v_mul_f64 v[126:127], v[192:193], s[20:21]
	s_waitcnt vmcnt(0)
	v_add_f64 v[140:141], v[88:89], v[140:141]
	buffer_load_dword v88, off, s[64:67], 0 offset:156 ; 4-byte Folded Reload
	buffer_load_dword v89, off, s[64:67], 0 offset:160 ; 4-byte Folded Reload
	v_add_f64 v[104:105], v[140:141], v[104:105]
	v_mul_f64 v[140:141], v[206:207], s[22:23]
	s_waitcnt vmcnt(0)
	v_add_f64 v[148:149], v[88:89], v[148:149]
	buffer_load_dword v88, off, s[64:67], 0 offset:260 ; 4-byte Folded Reload
	buffer_load_dword v89, off, s[64:67], 0 offset:264 ; 4-byte Folded Reload
	;; [unrolled: 1-line block ×4, first 2 shown]
	v_add_f64 v[104:105], v[148:149], v[104:105]
	v_mul_f64 v[148:149], v[222:223], s[24:25]
	s_waitcnt vmcnt(2)
	v_add_f64 v[156:157], v[156:157], -v[88:89]
	buffer_load_dword v88, off, s[64:67], 0 offset:316 ; 4-byte Folded Reload
	buffer_load_dword v89, off, s[64:67], 0 offset:320 ; 4-byte Folded Reload
	s_waitcnt vmcnt(2)
	v_add_f64 v[2:3], v[2:3], v[154:155]
	v_mul_f64 v[154:155], v[220:221], s[24:25]
	v_add_f64 v[104:105], v[2:3], v[104:105]
	v_add_f64 v[2:3], v[100:101], v[48:49]
	;; [unrolled: 1-line block ×3, first 2 shown]
	buffer_load_dword v86, off, s[64:67], 0 offset:428 ; 4-byte Folded Reload
	buffer_load_dword v87, off, s[64:67], 0 offset:432 ; 4-byte Folded Reload
	v_add_f64 v[100:101], v[156:157], v[102:103]
	v_add_f64 v[102:103], v[120:121], v[108:109]
	s_waitcnt vmcnt(2)
	v_add_f64 v[160:161], v[88:89], v[160:161]
	buffer_load_dword v88, off, s[64:67], 0 offset:324 ; 4-byte Folded Reload
	buffer_load_dword v89, off, s[64:67], 0 offset:328 ; 4-byte Folded Reload
	v_add_f64 v[104:105], v[160:161], v[104:105]
	s_waitcnt vmcnt(2)
	v_add_f64 v[86:87], v[86:87], v[124:125]
	s_waitcnt vmcnt(0)
	v_add_f64 v[98:99], v[162:163], -v[88:89]
	buffer_load_dword v88, off, s[64:67], 0 offset:396 ; 4-byte Folded Reload
	buffer_load_dword v89, off, s[64:67], 0 offset:400 ; 4-byte Folded Reload
	buffer_load_dword v50, off, s[64:67], 0 offset:420 ; 4-byte Folded Reload
	buffer_load_dword v51, off, s[64:67], 0 offset:424 ; 4-byte Folded Reload
	buffer_load_dword v84, off, s[64:67], 0 offset:380 ; 4-byte Folded Reload
	buffer_load_dword v85, off, s[64:67], 0 offset:384 ; 4-byte Folded Reload
	v_add_f64 v[98:99], v[98:99], v[100:101]
	s_waitcnt vmcnt(4)
	v_add_f64 v[108:109], v[88:89], v[168:169]
	buffer_load_dword v88, off, s[64:67], 0 offset:412 ; 4-byte Folded Reload
	buffer_load_dword v89, off, s[64:67], 0 offset:416 ; 4-byte Folded Reload
	s_waitcnt vmcnt(2)
	v_add_f64 v[84:85], v[170:171], -v[84:85]
	v_add_f64 v[50:51], v[176:177], -v[50:51]
	v_add_f64 v[104:105], v[108:109], v[104:105]
	s_waitcnt vmcnt(0)
	v_add_f64 v[100:101], v[88:89], v[174:175]
	buffer_load_dword v88, off, s[64:67], 0 offset:460 ; 4-byte Folded Reload
	buffer_load_dword v89, off, s[64:67], 0 offset:464 ; 4-byte Folded Reload
	;; [unrolled: 1-line block ×6, first 2 shown]
	s_waitcnt vmcnt(4)
	v_add_f64 v[96:97], v[88:89], v[96:97]
	buffer_load_dword v88, off, s[64:67], 0 offset:492 ; 4-byte Folded Reload
	buffer_load_dword v89, off, s[64:67], 0 offset:496 ; 4-byte Folded Reload
	s_waitcnt vmcnt(4)
	v_add_f64 v[12:13], v[110:111], -v[12:13]
	s_waitcnt vmcnt(2)
	v_add_f64 v[14:15], v[112:113], -v[14:15]
	v_add_f64 v[6:7], v[6:7], v[96:97]
	v_add_f64 v[12:13], v[4:5], v[12:13]
	;; [unrolled: 1-line block ×3, first 2 shown]
	s_waitcnt vmcnt(0)
	v_add_f64 v[108:109], v[118:119], -v[88:89]
	buffer_load_dword v88, off, s[64:67], 0 offset:484 ; 4-byte Folded Reload
	buffer_load_dword v89, off, s[64:67], 0 offset:488 ; 4-byte Folded Reload
	v_add_f64 v[4:5], v[108:109], v[4:5]
	s_waitcnt vmcnt(0)
	v_add_f64 v[110:111], v[88:89], v[130:131]
	buffer_load_dword v88, off, s[64:67], 0 offset:476 ; 4-byte Folded Reload
	buffer_load_dword v89, off, s[64:67], 0 offset:480 ; 4-byte Folded Reload
	;; [unrolled: 1-line block ×12, first 2 shown]
	v_add_f64 v[6:7], v[110:111], v[6:7]
	s_waitcnt vmcnt(10)
	v_add_f64 v[96:97], v[128:129], -v[88:89]
	s_waitcnt vmcnt(8)
	v_add_f64 v[14:15], v[138:139], -v[14:15]
	s_waitcnt vmcnt(6)
	v_add_f64 v[24:25], v[24:25], v[136:137]
	s_waitcnt vmcnt(4)
	v_add_f64 v[26:27], v[132:133], -v[26:27]
	s_waitcnt vmcnt(2)
	v_add_f64 v[28:29], v[146:147], -v[28:29]
	s_waitcnt vmcnt(0)
	v_add_f64 v[30:31], v[30:31], v[144:145]
	v_add_f64 v[12:13], v[96:97], v[12:13]
	;; [unrolled: 1-line block ×3, first 2 shown]
	buffer_load_dword v14, off, s[64:67], 0 offset:140 ; 4-byte Folded Reload
	buffer_load_dword v15, off, s[64:67], 0 offset:144 ; 4-byte Folded Reload
	buffer_load_dword v16, off, s[64:67], 0 offset:124 ; 4-byte Folded Reload
	buffer_load_dword v17, off, s[64:67], 0 offset:128 ; 4-byte Folded Reload
	v_add_f64 v[6:7], v[24:25], v[6:7]
	buffer_load_dword v18, off, s[64:67], 0 offset:108 ; 4-byte Folded Reload
	buffer_load_dword v19, off, s[64:67], 0 offset:112 ; 4-byte Folded Reload
	;; [unrolled: 1-line block ×6, first 2 shown]
	v_add_f64 v[24:25], v[142:143], -v[90:91]
	v_add_f64 v[12:13], v[26:27], v[12:13]
	v_add_f64 v[4:5], v[28:29], v[4:5]
	;; [unrolled: 1-line block ×6, first 2 shown]
	s_waitcnt vmcnt(8)
	v_add_f64 v[14:15], v[152:153], -v[14:15]
	s_waitcnt vmcnt(6)
	v_add_f64 v[16:17], v[16:17], v[122:123]
	s_waitcnt vmcnt(4)
	v_add_f64 v[18:19], v[150:151], -v[18:19]
	s_waitcnt vmcnt(2)
	v_add_f64 v[20:21], v[158:159], -v[20:21]
	s_waitcnt vmcnt(0)
	v_add_f64 v[22:23], v[22:23], v[134:135]
	v_add_f64 v[4:5], v[14:15], v[4:5]
	;; [unrolled: 1-line block ×3, first 2 shown]
	buffer_load_dword v16, off, s[64:67], 0 offset:188 ; 4-byte Folded Reload
	buffer_load_dword v17, off, s[64:67], 0 offset:192 ; 4-byte Folded Reload
	v_add_f64 v[12:13], v[18:19], v[12:13]
	buffer_load_dword v14, off, s[64:67], 0 offset:308 ; 4-byte Folded Reload
	buffer_load_dword v15, off, s[64:67], 0 offset:312 ; 4-byte Folded Reload
	;; [unrolled: 1-line block ×4, first 2 shown]
	v_add_f64 v[4:5], v[20:21], v[4:5]
	v_add_f64 v[6:7], v[22:23], v[6:7]
	buffer_load_dword v22, off, s[64:67], 0 offset:284 ; 4-byte Folded Reload
	buffer_load_dword v23, off, s[64:67], 0 offset:288 ; 4-byte Folded Reload
	s_waitcnt vmcnt(6)
	v_add_f64 v[16:17], v[126:127], -v[16:17]
	s_waitcnt vmcnt(4)
	v_add_f64 v[14:15], v[166:167], -v[14:15]
	s_waitcnt vmcnt(2)
	v_add_f64 v[18:19], v[18:19], v[164:165]
	v_add_f64 v[12:13], v[16:17], v[12:13]
	buffer_load_dword v16, off, s[64:67], 0 offset:388 ; 4-byte Folded Reload
	buffer_load_dword v17, off, s[64:67], 0 offset:392 ; 4-byte Folded Reload
	s_waitcnt vmcnt(2)
	v_add_f64 v[22:23], v[140:141], -v[22:23]
	v_add_f64 v[18:19], v[18:19], v[6:7]
	v_add_f64 v[4:5], v[14:15], v[4:5]
	;; [unrolled: 1-line block ×4, first 2 shown]
	s_waitcnt vmcnt(0)
	v_add_f64 v[20:21], v[172:173], -v[16:17]
	buffer_load_dword v16, off, s[64:67], 0 offset:364 ; 4-byte Folded Reload
	buffer_load_dword v17, off, s[64:67], 0 offset:368 ; 4-byte Folded Reload
	;; [unrolled: 1-line block ×4, first 2 shown]
	s_waitcnt vmcnt(2)
	v_add_f64 v[16:17], v[16:17], v[148:149]
	s_waitcnt vmcnt(0)
	v_add_f64 v[24:25], v[154:155], -v[6:7]
	v_add_f64 v[6:7], v[86:87], v[102:103]
	v_add_f64 v[14:15], v[16:17], v[18:19]
	;; [unrolled: 1-line block ×8, first 2 shown]
	v_mul_lo_u16_e32 v20, 17, v178
	v_add_lshl_u32 v20, v232, v20, 4
	ds_write_b128 v20, v[16:19]
	ds_write_b128 v20, v[12:15] offset:16
	ds_write_b128 v20, v[8:11] offset:32
	;; [unrolled: 1-line block ×8, first 2 shown]
	buffer_load_dword v0, off, s[64:67], 0 offset:436 ; 4-byte Folded Reload
	buffer_load_dword v1, off, s[64:67], 0 offset:440 ; 4-byte Folded Reload
	;; [unrolled: 1-line block ×4, first 2 shown]
	s_waitcnt vmcnt(0)
	ds_write_b128 v20, v[0:3] offset:144
	ds_write_b128 v20, v[80:83] offset:160
	;; [unrolled: 1-line block ×8, first 2 shown]
.LBB0_7:
	s_or_b64 exec, exec, s[4:5]
	v_add_lshl_u32 v255, v232, v178, 4
	s_waitcnt vmcnt(0) lgkmcnt(0)
	s_barrier
	ds_read_b128 v[72:75], v255
	ds_read_b128 v[76:79], v255 offset:1088
	ds_read_b128 v[96:99], v255 offset:7616
	;; [unrolled: 1-line block ×11, first 2 shown]
	v_cmp_gt_u16_e64 s[0:1], 34, v178
	s_and_saveexec_b64 s[2:3], s[0:1]
	s_cbranch_execz .LBB0_9
; %bb.8:
	ds_read_b128 v[52:55], v255 offset:3264
	ds_read_b128 v[64:67], v255 offset:7072
	;; [unrolled: 1-line block ×4, first 2 shown]
.LBB0_9:
	s_or_b64 exec, exec, s[2:3]
	s_movk_i32 s4, 0xf1
	v_add_u16_e32 v2, 0x44, v178
	v_mul_lo_u16_sdwa v0, v178, s4 dst_sel:DWORD dst_unused:UNUSED_PAD src0_sel:BYTE_0 src1_sel:DWORD
	v_mul_lo_u16_sdwa v3, v2, s4 dst_sel:DWORD dst_unused:UNUSED_PAD src0_sel:BYTE_0 src1_sel:DWORD
	v_add_u16_e32 v8, 0xcc, v178
	v_lshrrev_b16_e32 v43, 12, v0
	v_lshrrev_b16_e32 v45, 12, v3
	v_mul_u32_u24_e32 v9, 0xf0f1, v8
	v_mul_lo_u16_e32 v0, 17, v43
	v_mul_lo_u16_e32 v3, 17, v45
	v_lshrrev_b32_e32 v51, 20, v9
	v_sub_u16_e32 v0, v178, v0
	v_sub_u16_e32 v2, v2, v3
	v_mul_lo_u16_e32 v4, 17, v51
	v_and_b32_e32 v44, 0xff, v0
	v_and_b32_e32 v46, 0xff, v2
	v_sub_u16_e32 v4, v8, v4
	v_mad_u64_u32 v[0:1], s[2:3], v44, 48, s[8:9]
	v_mad_u64_u32 v[2:3], s[2:3], v46, 48, s[8:9]
	buffer_store_dword v4, off, s[64:67], 0 offset:36 ; 4-byte Folded Spill
	v_mul_lo_u16_e32 v4, 48, v4
	v_mov_b32_e32 v5, s9
	v_add_co_u32_e64 v4, s[2:3], s8, v4
	v_addc_co_u32_e64 v5, s[2:3], 0, v5, s[2:3]
	global_load_dwordx4 v[124:127], v[4:5], off offset:32
	global_load_dwordx4 v[128:131], v[4:5], off offset:16
	;; [unrolled: 1-line block ×3, first 2 shown]
	global_load_dwordx4 v[168:171], v[0:1], off
	global_load_dwordx4 v[148:151], v[2:3], off offset:16
	global_load_dwordx4 v[164:167], v[0:1], off offset:32
	global_load_dwordx4 v[160:163], v[2:3], off
	v_add_u16_e32 v10, 0x88, v178
	v_mul_lo_u16_sdwa v0, v10, s4 dst_sel:DWORD dst_unused:UNUSED_PAD src0_sel:BYTE_0 src1_sel:DWORD
	v_lshrrev_b16_e32 v47, 12, v0
	v_mul_lo_u16_e32 v0, 17, v47
	v_sub_u16_e32 v0, v10, v0
	v_and_b32_e32 v48, 0xff, v0
	v_mad_u64_u32 v[0:1], s[2:3], v48, 48, s[8:9]
	global_load_dwordx4 v[152:155], v[2:3], off offset:32
	global_load_dwordx4 v[144:147], v[0:1], off
                                        ; kill: killed $vgpr2_vgpr3
	global_load_dwordx4 v[140:143], v[0:1], off offset:16
	global_load_dwordx4 v[136:139], v[0:1], off offset:32
	global_load_dwordx4 v[132:135], v[4:5], off
	s_load_dwordx4 s[4:7], s[6:7], 0x0
	v_mul_u32_u24_e32 v43, 0x44, v43
	v_add_u32_e32 v43, v43, v44
	s_movk_i32 s11, 0x44
	s_mov_b32 s10, 0xf0f1
	s_waitcnt vmcnt(11) lgkmcnt(0)
	v_mul_f64 v[4:5], v[58:59], v[126:127]
	s_waitcnt vmcnt(10)
	v_mul_f64 v[0:1], v[62:63], v[130:131]
	v_mul_f64 v[2:3], v[60:61], v[130:131]
	s_waitcnt vmcnt(8)
	v_mul_f64 v[11:12], v[110:111], v[170:171]
	v_mul_f64 v[6:7], v[56:57], v[126:127]
	;; [unrolled: 1-line block ×5, first 2 shown]
	v_fma_f64 v[56:57], v[56:57], v[124:125], -v[4:5]
	v_fma_f64 v[0:1], v[60:61], v[128:129], -v[0:1]
	buffer_store_dword v128, off, s[64:67], 0 offset:348 ; 4-byte Folded Spill
	s_nop 0
	buffer_store_dword v129, off, s[64:67], 0 offset:352 ; 4-byte Folded Spill
	buffer_store_dword v130, off, s[64:67], 0 offset:356 ; 4-byte Folded Spill
	;; [unrolled: 1-line block ×4, first 2 shown]
	s_nop 0
	buffer_store_dword v125, off, s[64:67], 0 offset:336 ; 4-byte Folded Spill
	buffer_store_dword v126, off, s[64:67], 0 offset:340 ; 4-byte Folded Spill
	;; [unrolled: 1-line block ×3, first 2 shown]
	v_fma_f64 v[4:5], v[108:109], v[168:169], -v[11:12]
	buffer_store_dword v168, off, s[64:67], 0 offset:172 ; 4-byte Folded Spill
	s_nop 0
	buffer_store_dword v169, off, s[64:67], 0 offset:176 ; 4-byte Folded Spill
	buffer_store_dword v170, off, s[64:67], 0 offset:180 ; 4-byte Folded Spill
	;; [unrolled: 1-line block ×3, first 2 shown]
	s_waitcnt vmcnt(18)
	v_mul_f64 v[19:20], v[114:115], v[166:167]
	v_mul_f64 v[21:22], v[112:113], v[166:167]
	s_waitcnt vmcnt(17)
	v_mul_f64 v[23:24], v[102:103], v[162:163]
	v_mul_f64 v[25:26], v[100:101], v[162:163]
	;; [unrolled: 1-line block ×4, first 2 shown]
	s_waitcnt vmcnt(16)
	v_mul_f64 v[31:32], v[106:107], v[154:155]
	v_mul_f64 v[33:34], v[104:105], v[154:155]
	s_waitcnt vmcnt(15)
	v_mul_f64 v[35:36], v[86:87], v[146:147]
	s_waitcnt vmcnt(14)
	v_mul_f64 v[39:40], v[90:91], v[142:143]
	v_mul_f64 v[37:38], v[84:85], v[146:147]
	;; [unrolled: 1-line block ×3, first 2 shown]
	s_waitcnt vmcnt(13)
	v_mul_f64 v[116:117], v[94:95], v[138:139]
	s_waitcnt vmcnt(12)
	v_mul_f64 v[120:121], v[66:67], v[134:135]
	v_mul_f64 v[118:119], v[92:93], v[138:139]
	;; [unrolled: 1-line block ×3, first 2 shown]
	v_fma_f64 v[35:36], v[84:85], v[144:145], -v[35:36]
	v_add_f64 v[0:1], v[52:53], -v[0:1]
	v_fma_f64 v[60:61], v[64:65], v[132:133], -v[120:121]
	v_fma_f64 v[2:3], v[62:63], v[128:129], v[2:3]
	v_fma_f64 v[6:7], v[58:59], v[124:125], v[6:7]
	;; [unrolled: 1-line block ×3, first 2 shown]
	v_fma_f64 v[13:14], v[96:97], v[156:157], -v[15:16]
	buffer_store_dword v156, off, s[64:67], 0 offset:124 ; 4-byte Folded Spill
	s_nop 0
	buffer_store_dword v157, off, s[64:67], 0 offset:128 ; 4-byte Folded Spill
	buffer_store_dword v158, off, s[64:67], 0 offset:132 ; 4-byte Folded Spill
	;; [unrolled: 1-line block ×3, first 2 shown]
	v_add_f64 v[64:65], v[72:73], -v[13:14]
	v_fma_f64 v[15:16], v[98:99], v[156:157], v[17:18]
	v_fma_f64 v[17:18], v[112:113], v[164:165], -v[19:20]
	buffer_store_dword v164, off, s[64:67], 0 offset:156 ; 4-byte Folded Spill
	s_nop 0
	buffer_store_dword v165, off, s[64:67], 0 offset:160 ; 4-byte Folded Spill
	buffer_store_dword v166, off, s[64:67], 0 offset:164 ; 4-byte Folded Spill
	buffer_store_dword v167, off, s[64:67], 0 offset:168 ; 4-byte Folded Spill
	v_add_f64 v[13:14], v[4:5], -v[17:18]
	v_fma_f64 v[4:5], v[4:5], 2.0, -v[13:14]
	v_fma_f64 v[19:20], v[114:115], v[164:165], v[21:22]
	v_fma_f64 v[21:22], v[100:101], v[160:161], -v[23:24]
	buffer_store_dword v160, off, s[64:67], 0 offset:140 ; 4-byte Folded Spill
	s_nop 0
	buffer_store_dword v161, off, s[64:67], 0 offset:144 ; 4-byte Folded Spill
	buffer_store_dword v162, off, s[64:67], 0 offset:148 ; 4-byte Folded Spill
	;; [unrolled: 1-line block ×3, first 2 shown]
	v_fma_f64 v[23:24], v[102:103], v[160:161], v[25:26]
	v_fma_f64 v[25:26], v[80:81], v[148:149], -v[27:28]
	buffer_store_dword v148, off, s[64:67], 0 offset:92 ; 4-byte Folded Spill
	s_nop 0
	buffer_store_dword v149, off, s[64:67], 0 offset:96 ; 4-byte Folded Spill
	buffer_store_dword v150, off, s[64:67], 0 offset:100 ; 4-byte Folded Spill
	;; [unrolled: 1-line block ×3, first 2 shown]
	v_add_f64 v[80:81], v[76:77], -v[25:26]
	v_fma_f64 v[27:28], v[82:83], v[148:149], v[29:30]
	v_fma_f64 v[29:30], v[104:105], v[152:153], -v[31:32]
	buffer_store_dword v152, off, s[64:67], 0 offset:108 ; 4-byte Folded Spill
	s_nop 0
	buffer_store_dword v153, off, s[64:67], 0 offset:112 ; 4-byte Folded Spill
	buffer_store_dword v154, off, s[64:67], 0 offset:116 ; 4-byte Folded Spill
	;; [unrolled: 1-line block ×4, first 2 shown]
	s_nop 0
	buffer_store_dword v145, off, s[64:67], 0 offset:80 ; 4-byte Folded Spill
	buffer_store_dword v146, off, s[64:67], 0 offset:84 ; 4-byte Folded Spill
	;; [unrolled: 1-line block ×3, first 2 shown]
	v_add_f64 v[82:83], v[78:79], -v[27:28]
	v_add_f64 v[84:85], v[21:22], -v[29:30]
	v_fma_f64 v[27:28], v[72:73], 2.0, -v[64:65]
	v_fma_f64 v[31:32], v[106:107], v[152:153], v[33:34]
	v_fma_f64 v[33:34], v[88:89], v[140:141], -v[39:40]
	buffer_store_dword v140, off, s[64:67], 0 offset:60 ; 4-byte Folded Spill
	s_nop 0
	buffer_store_dword v141, off, s[64:67], 0 offset:64 ; 4-byte Folded Spill
	buffer_store_dword v142, off, s[64:67], 0 offset:68 ; 4-byte Folded Spill
	;; [unrolled: 1-line block ×3, first 2 shown]
	v_fma_f64 v[37:38], v[86:87], v[144:145], v[37:38]
	v_add_f64 v[86:87], v[23:24], -v[31:32]
	v_add_f64 v[88:89], v[68:69], -v[33:34]
	v_fma_f64 v[31:32], v[76:77], 2.0, -v[80:81]
	v_fma_f64 v[33:34], v[78:79], 2.0, -v[82:83]
	;; [unrolled: 1-line block ×3, first 2 shown]
	v_fma_f64 v[39:40], v[90:91], v[140:141], v[41:42]
	v_fma_f64 v[41:42], v[92:93], v[136:137], -v[116:117]
	buffer_store_dword v136, off, s[64:67], 0 offset:44 ; 4-byte Folded Spill
	s_nop 0
	buffer_store_dword v137, off, s[64:67], 0 offset:48 ; 4-byte Folded Spill
	buffer_store_dword v138, off, s[64:67], 0 offset:52 ; 4-byte Folded Spill
	;; [unrolled: 1-line block ×4, first 2 shown]
	s_nop 0
	buffer_store_dword v133, off, s[64:67], 0 offset:368 ; 4-byte Folded Spill
	buffer_store_dword v134, off, s[64:67], 0 offset:372 ; 4-byte Folded Spill
	;; [unrolled: 1-line block ×3, first 2 shown]
	s_waitcnt vmcnt(0)
	s_barrier
	v_add_f64 v[72:73], v[70:71], -v[39:40]
	v_fma_f64 v[58:59], v[94:95], v[136:137], v[118:119]
	v_fma_f64 v[62:63], v[66:67], v[132:133], v[122:123]
	v_add_f64 v[66:67], v[74:75], -v[15:16]
	v_add_f64 v[15:16], v[11:12], -v[19:20]
	v_fma_f64 v[19:20], v[21:22], 2.0, -v[84:85]
	v_fma_f64 v[21:22], v[23:24], 2.0, -v[86:87]
	v_add_f64 v[58:59], v[37:38], -v[58:59]
	v_add_f64 v[76:77], v[62:63], -v[6:7]
	v_fma_f64 v[29:30], v[74:75], 2.0, -v[66:67]
	v_fma_f64 v[17:18], v[11:12], 2.0, -v[15:16]
	v_add_f64 v[74:75], v[35:36], -v[41:42]
	v_add_f64 v[11:12], v[64:65], -v[15:16]
	;; [unrolled: 1-line block ×4, first 2 shown]
	v_fma_f64 v[41:42], v[37:38], 2.0, -v[58:59]
	v_add_f64 v[13:14], v[66:67], v[13:14]
	v_add_f64 v[19:20], v[31:32], -v[19:20]
	v_add_f64 v[17:18], v[29:30], -v[17:18]
	v_fma_f64 v[39:40], v[35:36], 2.0, -v[74:75]
	v_fma_f64 v[23:24], v[64:65], 2.0, -v[11:12]
	;; [unrolled: 1-line block ×3, first 2 shown]
	v_add_f64 v[70:71], v[60:61], -v[56:57]
	v_add_f64 v[21:22], v[33:34], -v[21:22]
	;; [unrolled: 1-line block ×3, first 2 shown]
	v_add_f64 v[58:59], v[72:73], v[74:75]
	v_fma_f64 v[2:3], v[52:53], 2.0, -v[0:1]
	v_add_f64 v[39:40], v[68:69], -v[39:40]
	v_fma_f64 v[6:7], v[54:55], 2.0, -v[4:5]
	v_add_f64 v[41:42], v[64:65], -v[41:42]
	v_fma_f64 v[74:75], v[60:61], 2.0, -v[70:71]
	v_fma_f64 v[78:79], v[62:63], 2.0, -v[76:77]
	v_add_f64 v[35:36], v[80:81], -v[86:87]
	v_add_f64 v[37:38], v[82:83], v[84:85]
	v_fma_f64 v[27:28], v[27:28], 2.0, -v[15:16]
	v_fma_f64 v[29:30], v[29:30], 2.0, -v[17:18]
	;; [unrolled: 1-line block ×7, first 2 shown]
	v_add_f64 v[124:125], v[2:3], -v[74:75]
	v_add_f64 v[126:127], v[6:7], -v[78:79]
	;; [unrolled: 1-line block ×3, first 2 shown]
	v_add_f64 v[130:131], v[4:5], v[70:71]
	v_fma_f64 v[52:53], v[80:81], 2.0, -v[35:36]
	v_fma_f64 v[54:55], v[82:83], 2.0, -v[37:38]
	;; [unrolled: 1-line block ×4, first 2 shown]
	v_add_lshl_u32 v68, v232, v43, 4
	ds_write_b128 v68, v[27:30]
	ds_write_b128 v68, v[23:26] offset:272
	ds_write_b128 v68, v[15:18] offset:544
	;; [unrolled: 1-line block ×3, first 2 shown]
	v_mul_u32_u24_e32 v11, 0x44, v45
	v_add_u32_e32 v11, v11, v46
	v_add_lshl_u32 v69, v232, v11, 4
	v_mul_u32_u24_e32 v11, 0x44, v47
	v_add_u32_e32 v11, v11, v48
	v_add_lshl_u32 v70, v232, v11, 4
	ds_write_b128 v69, v[31:34]
	ds_write_b128 v69, v[52:55] offset:272
	ds_write_b128 v69, v[19:22] offset:544
	;; [unrolled: 1-line block ×3, first 2 shown]
	ds_write_b128 v70, v[60:63]
	ds_write_b128 v70, v[64:67] offset:272
	ds_write_b128 v70, v[39:42] offset:544
	;; [unrolled: 1-line block ×3, first 2 shown]
	s_and_saveexec_b64 s[2:3], s[0:1]
	s_cbranch_execz .LBB0_11
; %bb.10:
	v_fma_f64 v[11:12], v[2:3], 2.0, -v[124:125]
	v_fma_f64 v[2:3], v[0:1], 2.0, -v[128:129]
	buffer_load_dword v0, off, s[64:67], 0 offset:36 ; 4-byte Folded Reload
	v_fma_f64 v[13:14], v[6:7], 2.0, -v[126:127]
	v_fma_f64 v[4:5], v[4:5], 2.0, -v[130:131]
	s_waitcnt vmcnt(0)
	v_mad_legacy_u16 v0, v51, s11, v0
	v_add_lshl_u32 v0, v232, v0, 4
	ds_write_b128 v0, v[124:127] offset:544
	ds_write_b128 v0, v[11:14]
	ds_write_b128 v0, v[2:5] offset:272
	ds_write_b128 v0, v[128:131] offset:816
.LBB0_11:
	s_or_b64 exec, exec, s[2:3]
	s_waitcnt lgkmcnt(0)
	s_barrier
	buffer_load_dword v49, off, s[64:67], 0 offset:4 ; 4-byte Folded Reload
	v_add_u32_e32 v0, 0x110, v178
	v_mul_u32_u24_sdwa v5, v0, s10 dst_sel:DWORD dst_unused:UNUSED_PAD src0_sel:WORD_0 src1_sel:DWORD
	v_lshrrev_b32_e32 v5, 22, v5
	v_add_u32_e32 v1, 0x154, v178
	v_mul_lo_u16_e32 v5, 0x44, v5
	v_sub_u16_e32 v45, v0, v5
	v_mul_u32_u24_sdwa v5, v1, s10 dst_sel:DWORD dst_unused:UNUSED_PAD src0_sel:WORD_0 src1_sel:DWORD
	v_lshrrev_b32_e32 v5, 22, v5
	s_movk_i32 s2, 0x79
	v_mul_lo_u16_e32 v5, 0x44, v5
	v_add_u32_e32 v2, 0x198, v178
	v_mul_lo_u16_sdwa v3, v10, s2 dst_sel:DWORD dst_unused:UNUSED_PAD src0_sel:BYTE_0 src1_sel:DWORD
	v_lshlrev_b32_e32 v0, 4, v45
	v_sub_u16_e32 v46, v1, v5
	v_lshrrev_b16_e32 v3, 13, v3
	v_lshlrev_b32_e32 v1, 4, v46
	v_mul_lo_u16_e32 v3, 0x44, v3
	v_sub_u16_e32 v3, v10, v3
	v_lshrrev_b32_e32 v4, 22, v9
	v_and_b32_e32 v44, 0xff, v3
	v_mul_lo_u16_e32 v4, 0x44, v4
	v_lshlrev_b32_e32 v3, 4, v44
	v_sub_u16_e32 v48, v8, v4
	v_add_lshl_u32 v44, v232, v44, 4
	s_movk_i32 s2, 0x60
	s_mov_b32 s16, 0xe976ee23
	s_mov_b32 s17, 0xbfe11646
	;; [unrolled: 1-line block ×14, first 2 shown]
	s_waitcnt vmcnt(0)
	global_load_dwordx4 v[52:55], v49, s[8:9] offset:816
	global_load_dwordx4 v[60:63], v0, s[8:9] offset:816
	;; [unrolled: 1-line block ×3, first 2 shown]
	v_mul_u32_u24_sdwa v0, v2, s10 dst_sel:DWORD dst_unused:UNUSED_PAD src0_sel:WORD_0 src1_sel:DWORD
	v_lshrrev_b32_e32 v0, 22, v0
	v_mul_lo_u16_e32 v0, 0x44, v0
	v_sub_u16_e32 v47, v2, v0
	v_lshlrev_b32_e32 v0, 4, v47
	global_load_dwordx4 v[71:74], v0, s[8:9] offset:816
	global_load_dwordx4 v[64:67], v3, s[8:9] offset:816
	v_lshlrev_b32_e32 v0, 4, v48
	global_load_dwordx4 v[116:119], v0, s[8:9] offset:816
	ds_read_b128 v[0:3], v255
	ds_read_b128 v[4:7], v255 offset:1088
	ds_read_b128 v[8:11], v255 offset:8704
	;; [unrolled: 1-line block ×13, first 2 shown]
	s_waitcnt vmcnt(0) lgkmcnt(0)
	s_barrier
	v_add_lshl_u32 v48, v232, v48, 4
	s_mov_b32 s10, 0x429ad128
	s_mov_b32 s11, 0x3febfeb5
	v_mul_f64 v[96:97], v[30:31], v[62:63]
	v_mul_f64 v[88:89], v[42:43], v[54:55]
	;; [unrolled: 1-line block ×11, first 2 shown]
	v_fma_f64 v[40:41], v[40:41], v[52:53], -v[88:89]
	v_fma_f64 v[88:89], v[8:9], v[52:53], -v[92:93]
	;; [unrolled: 1-line block ×3, first 2 shown]
	buffer_store_dword v60, off, s[64:67], 0 offset:204 ; 4-byte Folded Spill
	s_nop 0
	buffer_store_dword v61, off, s[64:67], 0 offset:208 ; 4-byte Folded Spill
	buffer_store_dword v62, off, s[64:67], 0 offset:212 ; 4-byte Folded Spill
	;; [unrolled: 1-line block ×3, first 2 shown]
	v_fma_f64 v[80:81], v[80:81], v[56:57], -v[100:101]
	buffer_store_dword v56, off, s[64:67], 0 offset:188 ; 4-byte Folded Spill
	s_nop 0
	buffer_store_dword v57, off, s[64:67], 0 offset:192 ; 4-byte Folded Spill
	buffer_store_dword v58, off, s[64:67], 0 offset:196 ; 4-byte Folded Spill
	;; [unrolled: 1-line block ×3, first 2 shown]
	v_fma_f64 v[92:93], v[12:13], v[64:65], -v[108:109]
	buffer_store_dword v64, off, s[64:67], 0 offset:228 ; 4-byte Folded Spill
	s_nop 0
	buffer_store_dword v65, off, s[64:67], 0 offset:232 ; 4-byte Folded Spill
	buffer_store_dword v66, off, s[64:67], 0 offset:236 ; 4-byte Folded Spill
	;; [unrolled: 1-line block ×3, first 2 shown]
	v_mul_f64 v[114:115], v[24:25], v[118:119]
	v_fma_f64 v[96:97], v[24:25], v[116:117], -v[112:113]
	buffer_store_dword v116, off, s[64:67], 0 offset:244 ; 4-byte Folded Spill
	s_nop 0
	buffer_store_dword v117, off, s[64:67], 0 offset:248 ; 4-byte Folded Spill
	buffer_store_dword v118, off, s[64:67], 0 offset:252 ; 4-byte Folded Spill
	buffer_store_dword v119, off, s[64:67], 0 offset:256 ; 4-byte Folded Spill
	v_mul_f64 v[104:105], v[86:87], v[73:74]
	v_mul_f64 v[106:107], v[84:85], v[73:74]
	v_fma_f64 v[42:43], v[42:43], v[52:53], v[90:91]
	v_fma_f64 v[90:91], v[10:11], v[52:53], v[94:95]
	v_add_f64 v[8:9], v[0:1], -v[40:41]
	v_add_f64 v[12:13], v[4:5], -v[88:89]
	;; [unrolled: 1-line block ×4, first 2 shown]
	v_fma_f64 v[84:85], v[84:85], v[71:72], -v[104:105]
	v_fma_f64 v[86:87], v[86:87], v[71:72], v[106:107]
	v_add_f64 v[10:11], v[2:3], -v[42:43]
	v_add_f64 v[80:81], v[16:17], -v[92:93]
	v_fma_f64 v[0:1], v[0:1], 2.0, -v[8:9]
	v_fma_f64 v[4:5], v[4:5], 2.0, -v[12:13]
	v_add_f64 v[40:41], v[76:77], -v[84:85]
	v_add_f64 v[42:43], v[78:79], -v[86:87]
	;; [unrolled: 1-line block ×3, first 2 shown]
	v_fma_f64 v[2:3], v[2:3], 2.0, -v[10:11]
	v_fma_f64 v[16:17], v[16:17], 2.0, -v[80:81]
	;; [unrolled: 1-line block ×3, first 2 shown]
	v_fma_f64 v[30:31], v[30:31], v[60:61], v[98:99]
	v_fma_f64 v[82:83], v[82:83], v[56:57], v[102:103]
	;; [unrolled: 1-line block ×3, first 2 shown]
	v_add_f64 v[14:15], v[6:7], -v[90:91]
	ds_write_b128 v255, v[8:11] offset:1088
	ds_write_b128 v255, v[12:15] offset:3264
	v_fma_f64 v[98:99], v[26:27], v[116:117], v[114:115]
	v_add_f64 v[26:27], v[34:35], -v[30:31]
	v_add_f64 v[30:31], v[38:39], -v[82:83]
	;; [unrolled: 1-line block ×3, first 2 shown]
	v_fma_f64 v[6:7], v[6:7], 2.0, -v[14:15]
	v_fma_f64 v[8:9], v[32:33], 2.0, -v[24:25]
	;; [unrolled: 1-line block ×4, first 2 shown]
	v_add_f64 v[86:87], v[22:23], -v[98:99]
	v_fma_f64 v[10:11], v[34:35], 2.0, -v[26:27]
	v_fma_f64 v[14:15], v[38:39], 2.0, -v[30:31]
	;; [unrolled: 1-line block ×4, first 2 shown]
	ds_write_b128 v255, v[0:3]
	ds_write_b128 v255, v[4:7] offset:2176
	ds_write_b128 v44, v[80:83] offset:5440
	v_add_lshl_u32 v0, v232, v45, 4
	buffer_store_dword v44, off, s[64:67], 0 offset:260 ; 4-byte Folded Spill
	v_fma_f64 v[22:23], v[22:23], 2.0, -v[86:87]
	ds_write_b128 v44, v[16:19] offset:4352
	ds_write_b128 v48, v[20:23] offset:6528
	;; [unrolled: 1-line block ×4, first 2 shown]
	buffer_store_dword v0, off, s[64:67], 0 offset:300 ; 4-byte Folded Spill
	ds_write_b128 v0, v[24:27] offset:9792
	v_add_lshl_u32 v0, v232, v46, 4
	ds_write_b128 v0, v[12:15] offset:10880
	buffer_store_dword v0, off, s[64:67], 0 offset:308 ; 4-byte Folded Spill
	ds_write_b128 v0, v[28:31] offset:11968
	v_add_lshl_u32 v0, v232, v47, 4
	ds_write_b128 v0, v[32:35] offset:13056
	buffer_store_dword v0, off, s[64:67], 0 offset:316 ; 4-byte Folded Spill
	ds_write_b128 v0, v[40:43] offset:14144
	v_mov_b32_e32 v0, s8
	v_mov_b32_e32 v1, s9
	v_mad_u64_u32 v[0:1], s[2:3], v178, s2, v[0:1]
	buffer_store_dword v48, off, s[64:67], 0 offset:220 ; 4-byte Folded Spill
	s_waitcnt vmcnt(0) lgkmcnt(0)
	s_barrier
	global_load_dwordx4 v[92:95], v[0:1], off offset:1904
	global_load_dwordx4 v[88:91], v[0:1], off offset:1920
	;; [unrolled: 1-line block ×6, first 2 shown]
	s_movk_i32 s2, 0x1980
	v_add_co_u32_e64 v0, s[2:3], s2, v0
	v_addc_co_u32_e64 v1, s[2:3], 0, v1, s[2:3]
	global_load_dwordx4 v[116:119], v[0:1], off offset:1904
	global_load_dwordx4 v[112:115], v[0:1], off offset:1920
	;; [unrolled: 1-line block ×6, first 2 shown]
	ds_read_b128 v[0:3], v255
	ds_read_b128 v[4:7], v255 offset:1088
	ds_read_b128 v[8:11], v255 offset:2176
	;; [unrolled: 1-line block ×13, first 2 shown]
	s_mov_b32 s8, 0x37e14327
	s_mov_b32 s2, 0x36b3c0b5
	;; [unrolled: 1-line block ×4, first 2 shown]
	v_mov_b32_e32 v44, v178
	s_waitcnt vmcnt(11) lgkmcnt(11)
	v_mul_f64 v[144:145], v[10:11], v[94:95]
	v_mul_f64 v[146:147], v[8:9], v[94:95]
	s_waitcnt vmcnt(9) lgkmcnt(5)
	v_mul_f64 v[156:157], v[34:35], v[58:59]
	v_mul_f64 v[158:159], v[32:33], v[58:59]
	v_mul_f64 v[148:149], v[18:19], v[90:91]
	v_mul_f64 v[150:151], v[16:17], v[90:91]
	s_waitcnt vmcnt(6) lgkmcnt(3)
	v_mul_f64 v[160:161], v[42:43], v[102:103]
	v_mul_f64 v[162:163], v[40:41], v[102:103]
	s_waitcnt lgkmcnt(1)
	v_mul_f64 v[164:165], v[138:139], v[98:99]
	v_mul_f64 v[166:167], v[136:137], v[98:99]
	v_fma_f64 v[32:33], v[32:33], v[56:57], -v[156:157]
	buffer_store_dword v56, off, s[64:67], 0 offset:284 ; 4-byte Folded Spill
	s_nop 0
	buffer_store_dword v57, off, s[64:67], 0 offset:288 ; 4-byte Folded Spill
	buffer_store_dword v58, off, s[64:67], 0 offset:292 ; 4-byte Folded Spill
	;; [unrolled: 1-line block ×3, first 2 shown]
	v_mul_f64 v[152:153], v[26:27], v[86:87]
	v_mul_f64 v[154:155], v[24:25], v[86:87]
	s_waitcnt vmcnt(5)
	v_mul_f64 v[184:185], v[134:135], v[122:123]
	v_mul_f64 v[186:187], v[132:133], v[122:123]
	v_fma_f64 v[8:9], v[8:9], v[92:93], -v[144:145]
	v_fma_f64 v[10:11], v[10:11], v[92:93], v[146:147]
	v_fma_f64 v[16:17], v[16:17], v[88:89], -v[148:149]
	v_fma_f64 v[18:19], v[18:19], v[88:89], v[150:151]
	;; [unrolled: 2-line block ×5, first 2 shown]
	v_fma_f64 v[156:157], v[132:133], v[120:121], -v[184:185]
	s_waitcnt vmcnt(4) lgkmcnt(0)
	v_mul_f64 v[188:189], v[142:143], v[47:48]
	v_mul_f64 v[190:191], v[140:141], v[47:48]
	;; [unrolled: 1-line block ×3, first 2 shown]
	v_add_f64 v[132:133], v[8:9], v[136:137]
	v_add_f64 v[8:9], v[8:9], -v[136:137]
	v_add_f64 v[136:137], v[16:17], v[40:41]
	v_add_f64 v[16:17], v[16:17], -v[40:41]
	;; [unrolled: 2-line block ×3, first 2 shown]
	v_mul_f64 v[170:171], v[12:13], v[118:119]
	v_mul_f64 v[172:173], v[22:23], v[114:115]
	;; [unrolled: 1-line block ×4, first 2 shown]
	v_add_f64 v[32:33], v[136:137], v[132:133]
	v_add_f64 v[144:145], v[136:137], -v[132:133]
	v_add_f64 v[148:149], v[132:133], -v[40:41]
	;; [unrolled: 1-line block ×3, first 2 shown]
	v_add_f64 v[132:133], v[24:25], v[16:17]
	v_add_f64 v[152:153], v[24:25], -v[16:17]
	v_add_f64 v[16:17], v[16:17], -v[8:9]
	;; [unrolled: 1-line block ×3, first 2 shown]
	v_add_f64 v[32:33], v[40:41], v[32:33]
	v_mul_f64 v[178:179], v[28:29], v[110:111]
	v_mul_f64 v[180:181], v[38:39], v[106:107]
	;; [unrolled: 1-line block ×3, first 2 shown]
	v_add_f64 v[8:9], v[132:133], v[8:9]
	v_mul_f64 v[182:183], v[36:37], v[106:107]
	v_fma_f64 v[12:13], v[12:13], v[116:117], -v[168:169]
	v_fma_f64 v[14:15], v[14:15], v[116:117], v[170:171]
	v_add_f64 v[132:133], v[0:1], v[32:33]
	v_mul_f64 v[0:1], v[148:149], s[8:9]
	v_mul_f64 v[148:149], v[152:153], s[16:17]
	;; [unrolled: 1-line block ×3, first 2 shown]
	v_fma_f64 v[40:41], v[144:145], s[20:21], -v[40:41]
	v_fma_f64 v[20:21], v[20:21], v[112:113], -v[172:173]
	v_fma_f64 v[22:23], v[22:23], v[112:113], v[174:175]
	v_fma_f64 v[28:29], v[28:29], v[108:109], -v[176:177]
	v_fma_f64 v[32:33], v[32:33], s[18:19], v[132:133]
	v_fma_f64 v[136:137], v[136:137], s[2:3], v[0:1]
	v_fma_f64 v[0:1], v[144:145], s[22:23], -v[0:1]
	v_fma_f64 v[144:145], v[24:25], s[24:25], v[148:149]
	v_fma_f64 v[16:17], v[16:17], s[10:11], -v[148:149]
	v_fma_f64 v[24:25], v[24:25], s[28:29], -v[152:153]
	v_fma_f64 v[30:31], v[30:31], v[108:109], v[178:179]
	v_fma_f64 v[36:37], v[36:37], v[104:105], -v[180:181]
	v_add_f64 v[40:41], v[40:41], v[32:33]
	v_add_f64 v[160:161], v[136:137], v[32:33]
	;; [unrolled: 1-line block ×3, first 2 shown]
	v_fma_f64 v[38:39], v[38:39], v[104:105], v[182:183]
	v_fma_f64 v[24:25], v[8:9], s[26:27], v[24:25]
	;; [unrolled: 1-line block ×4, first 2 shown]
	v_add_f64 v[134:135], v[10:11], v[138:139]
	v_add_f64 v[10:11], v[10:11], -v[138:139]
	v_add_f64 v[138:139], v[18:19], v[42:43]
	v_add_f64 v[18:19], v[18:19], -v[42:43]
	;; [unrolled: 2-line block ×4, first 2 shown]
	v_add_f64 v[150:151], v[134:135], -v[42:43]
	v_add_f64 v[138:139], v[42:43], -v[138:139]
	v_add_f64 v[134:135], v[26:27], v[18:19]
	v_add_f64 v[154:155], v[26:27], -v[18:19]
	v_add_f64 v[34:35], v[42:43], v[34:35]
	v_add_f64 v[26:27], v[10:11], -v[26:27]
	v_add_f64 v[18:19], v[18:19], -v[10:11]
	v_mul_f64 v[42:43], v[138:139], s[2:3]
	v_add_f64 v[10:11], v[134:135], v[10:11]
	v_add_f64 v[134:135], v[2:3], v[34:35]
	v_mul_f64 v[2:3], v[150:151], s[8:9]
	v_mul_f64 v[150:151], v[154:155], s[16:17]
	;; [unrolled: 1-line block ×3, first 2 shown]
	v_fma_f64 v[42:43], v[146:147], s[20:21], -v[42:43]
	v_fma_f64 v[34:35], v[34:35], s[18:19], v[134:135]
	v_fma_f64 v[138:139], v[138:139], s[2:3], v[2:3]
	v_fma_f64 v[2:3], v[146:147], s[22:23], -v[2:3]
	v_fma_f64 v[146:147], v[26:27], s[24:25], v[150:151]
	v_fma_f64 v[18:19], v[18:19], s[10:11], -v[150:151]
	v_fma_f64 v[26:27], v[26:27], s[28:29], -v[154:155]
	v_add_f64 v[42:43], v[42:43], v[34:35]
	v_add_f64 v[162:163], v[138:139], v[34:35]
	;; [unrolled: 1-line block ×3, first 2 shown]
	v_fma_f64 v[34:35], v[8:9], s[26:27], v[144:145]
	v_fma_f64 v[8:9], v[8:9], s[26:27], v[16:17]
	v_fma_f64 v[16:17], v[140:141], v[45:46], -v[188:189]
	buffer_store_dword v45, off, s[64:67], 0 offset:268 ; 4-byte Folded Spill
	s_nop 0
	buffer_store_dword v46, off, s[64:67], 0 offset:272 ; 4-byte Folded Spill
	buffer_store_dword v47, off, s[64:67], 0 offset:276 ; 4-byte Folded Spill
	;; [unrolled: 1-line block ×3, first 2 shown]
	v_fma_f64 v[32:33], v[10:11], s[26:27], v[146:147]
	v_fma_f64 v[26:27], v[10:11], s[26:27], v[26:27]
	;; [unrolled: 1-line block ×3, first 2 shown]
	v_add_f64 v[154:155], v[24:25], v[2:3]
	v_add_f64 v[138:139], v[162:163], -v[34:35]
	v_add_f64 v[146:147], v[8:9], v[42:43]
	v_add_f64 v[150:151], v[42:43], -v[8:9]
	v_add_f64 v[8:9], v[12:13], -v[16:17]
	v_add_f64 v[136:137], v[32:33], v[160:161]
	v_add_f64 v[140:141], v[26:27], v[0:1]
	v_add_f64 v[144:145], v[40:41], -v[10:11]
	v_add_f64 v[148:149], v[10:11], v[40:41]
	v_add_f64 v[152:153], v[0:1], -v[26:27]
	v_add_f64 v[0:1], v[12:13], v[16:17]
	v_add_f64 v[12:13], v[20:21], v[156:157]
	v_add_f64 v[16:17], v[20:21], -v[156:157]
	v_add_f64 v[20:21], v[28:29], v[36:37]
	v_add_f64 v[26:27], v[38:39], -v[30:31]
	v_add_f64 v[160:161], v[160:161], -v[32:33]
	v_add_f64 v[162:163], v[34:35], v[162:163]
	v_fma_f64 v[18:19], v[142:143], v[45:46], v[190:191]
	v_add_f64 v[142:143], v[2:3], -v[24:25]
	v_add_f64 v[24:25], v[36:37], -v[28:29]
	v_add_f64 v[28:29], v[12:13], v[0:1]
	v_add_f64 v[36:37], v[12:13], -v[0:1]
	v_add_f64 v[0:1], v[0:1], -v[20:21]
	;; [unrolled: 1-line block ×3, first 2 shown]
	v_add_f64 v[2:3], v[14:15], v[18:19]
	v_add_f64 v[10:11], v[14:15], -v[18:19]
	v_add_f64 v[14:15], v[22:23], v[158:159]
	v_add_f64 v[18:19], v[22:23], -v[158:159]
	v_add_f64 v[22:23], v[30:31], v[38:39]
	v_add_f64 v[20:21], v[20:21], v[28:29]
	v_mul_f64 v[0:1], v[0:1], s[8:9]
	v_add_f64 v[40:41], v[24:25], v[16:17]
	v_add_f64 v[164:165], v[24:25], -v[16:17]
	v_add_f64 v[16:17], v[16:17], -v[8:9]
	v_add_f64 v[30:31], v[14:15], v[2:3]
	v_add_f64 v[38:39], v[14:15], -v[2:3]
	v_add_f64 v[2:3], v[2:3], -v[22:23]
	;; [unrolled: 1-line block ×3, first 2 shown]
	v_add_f64 v[42:43], v[26:27], v[18:19]
	v_add_f64 v[166:167], v[26:27], -v[18:19]
	v_add_f64 v[18:19], v[18:19], -v[10:11]
	;; [unrolled: 1-line block ×3, first 2 shown]
	v_add_f64 v[22:23], v[22:23], v[30:31]
	v_add_f64 v[156:157], v[4:5], v[20:21]
	v_mul_f64 v[2:3], v[2:3], s[8:9]
	v_mul_f64 v[4:5], v[12:13], s[2:3]
	v_add_f64 v[10:11], v[42:43], v[10:11]
	v_mul_f64 v[30:31], v[166:167], s[16:17]
	v_mul_f64 v[42:43], v[18:19], s[10:11]
	v_fma_f64 v[12:13], v[12:13], s[2:3], v[0:1]
	v_add_f64 v[158:159], v[6:7], v[22:23]
	v_mul_f64 v[6:7], v[14:15], s[2:3]
	v_fma_f64 v[20:21], v[20:21], s[18:19], v[156:157]
	v_fma_f64 v[14:15], v[14:15], s[2:3], v[2:3]
	v_fma_f64 v[0:1], v[36:37], s[22:23], -v[0:1]
	v_fma_f64 v[2:3], v[38:39], s[22:23], -v[2:3]
	v_add_f64 v[24:25], v[8:9], -v[24:25]
	v_add_f64 v[8:9], v[40:41], v[8:9]
	v_mul_f64 v[28:29], v[164:165], s[16:17]
	v_fma_f64 v[6:7], v[38:39], s[20:21], -v[6:7]
	v_fma_f64 v[38:39], v[26:27], s[24:25], v[30:31]
	v_fma_f64 v[26:27], v[26:27], s[28:29], -v[42:43]
	v_add_f64 v[0:1], v[0:1], v[20:21]
	v_mul_f64 v[40:41], v[16:17], s[10:11]
	v_fma_f64 v[22:23], v[22:23], s[18:19], v[158:159]
	v_fma_f64 v[4:5], v[36:37], s[20:21], -v[4:5]
	v_fma_f64 v[36:37], v[24:25], s[24:25], v[28:29]
	v_fma_f64 v[16:17], v[16:17], s[10:11], -v[28:29]
	v_fma_f64 v[18:19], v[18:19], s[10:11], -v[30:31]
	v_fma_f64 v[26:27], v[10:11], s[26:27], v[26:27]
	v_add_f64 v[12:13], v[12:13], v[20:21]
	v_fma_f64 v[24:25], v[24:25], s[28:29], -v[40:41]
	v_add_f64 v[14:15], v[14:15], v[22:23]
	v_add_f64 v[4:5], v[4:5], v[20:21]
	;; [unrolled: 1-line block ×4, first 2 shown]
	v_fma_f64 v[20:21], v[10:11], s[26:27], v[38:39]
	v_add_f64 v[168:169], v[26:27], v[0:1]
	v_add_f64 v[180:181], v[0:1], -v[26:27]
	buffer_load_dword v0, off, s[64:67], 0 offset:8 ; 4-byte Folded Reload
	v_fma_f64 v[22:23], v[8:9], s[26:27], v[36:37]
	v_fma_f64 v[24:25], v[8:9], s[26:27], v[24:25]
	v_fma_f64 v[10:11], v[10:11], s[26:27], v[18:19]
	v_fma_f64 v[8:9], v[8:9], s[26:27], v[16:17]
	v_add_f64 v[164:165], v[20:21], v[12:13]
	v_add_f64 v[184:185], v[12:13], -v[20:21]
	v_add_f64 v[166:167], v[14:15], -v[22:23]
	;; [unrolled: 1-line block ×4, first 2 shown]
	v_add_f64 v[174:175], v[8:9], v[6:7]
	v_add_f64 v[176:177], v[10:11], v[4:5]
	v_add_f64 v[178:179], v[6:7], -v[8:9]
	v_add_f64 v[182:183], v[24:25], v[2:3]
	v_add_f64 v[186:187], v[22:23], v[14:15]
	s_waitcnt vmcnt(0)
	v_lshl_add_u32 v46, v44, 4, v0
	v_add_u32_e32 v232, v0, v49
	ds_write_b128 v46, v[132:135]
	ds_write_b128 v232, v[136:139] offset:2176
	ds_write_b128 v232, v[140:143] offset:4352
	;; [unrolled: 1-line block ×13, first 2 shown]
	s_waitcnt lgkmcnt(0)
	s_barrier
	s_and_saveexec_b64 s[8:9], vcc
	s_cbranch_execz .LBB0_13
; %bb.12:
	buffer_load_dword v16, off, s[64:67], 0 offset:4 ; 4-byte Folded Reload
	s_add_u32 s10, s12, 0x3b80
	s_addc_u32 s11, s13, 0
	ds_read_b128 v[2:5], v46
	v_mov_b32_e32 v0, s11
	s_waitcnt vmcnt(0)
	global_load_dwordx4 v[6:9], v16, s[10:11]
	v_add_co_u32_e64 v1, s[2:3], s10, v16
	v_addc_co_u32_e64 v0, s[2:3], 0, v0, s[2:3]
	s_movk_i32 s2, 0x1000
	v_add_co_u32_e64 v14, s[2:3], s2, v1
	v_addc_co_u32_e64 v15, s[2:3], 0, v0, s[2:3]
	s_movk_i32 s2, 0x2000
	s_waitcnt vmcnt(0) lgkmcnt(0)
	v_mul_f64 v[10:11], v[4:5], v[8:9]
	v_fma_f64 v[10:11], v[2:3], v[6:7], -v[10:11]
	v_mul_f64 v[2:3], v[2:3], v[8:9]
	v_fma_f64 v[12:13], v[4:5], v[6:7], v[2:3]
	global_load_dwordx4 v[6:9], v16, s[10:11] offset:896
	ds_write_b128 v46, v[10:13]
	ds_read_b128 v[2:5], v232 offset:896
	s_waitcnt vmcnt(0) lgkmcnt(0)
	v_mul_f64 v[10:11], v[4:5], v[8:9]
	v_fma_f64 v[10:11], v[2:3], v[6:7], -v[10:11]
	v_mul_f64 v[2:3], v[2:3], v[8:9]
	v_fma_f64 v[12:13], v[4:5], v[6:7], v[2:3]
	global_load_dwordx4 v[6:9], v16, s[10:11] offset:1792
	ds_read_b128 v[2:5], v232 offset:1792
	ds_write_b128 v232, v[10:13] offset:896
	s_waitcnt vmcnt(0) lgkmcnt(1)
	v_mul_f64 v[10:11], v[4:5], v[8:9]
	v_fma_f64 v[10:11], v[2:3], v[6:7], -v[10:11]
	v_mul_f64 v[2:3], v[2:3], v[8:9]
	v_fma_f64 v[12:13], v[4:5], v[6:7], v[2:3]
	global_load_dwordx4 v[6:9], v16, s[10:11] offset:2688
	ds_read_b128 v[2:5], v232 offset:2688
	ds_write_b128 v232, v[10:13] offset:1792
	;; [unrolled: 8-line block ×3, first 2 shown]
	s_waitcnt vmcnt(0) lgkmcnt(1)
	v_mul_f64 v[10:11], v[4:5], v[8:9]
	v_fma_f64 v[10:11], v[2:3], v[6:7], -v[10:11]
	v_mul_f64 v[2:3], v[2:3], v[8:9]
	v_fma_f64 v[12:13], v[4:5], v[6:7], v[2:3]
	global_load_dwordx4 v[6:9], v[14:15], off offset:384
	ds_read_b128 v[2:5], v232 offset:4480
	ds_write_b128 v232, v[10:13] offset:3584
	s_waitcnt vmcnt(0) lgkmcnt(1)
	v_mul_f64 v[10:11], v[4:5], v[8:9]
	v_fma_f64 v[10:11], v[2:3], v[6:7], -v[10:11]
	v_mul_f64 v[2:3], v[2:3], v[8:9]
	v_fma_f64 v[12:13], v[4:5], v[6:7], v[2:3]
	global_load_dwordx4 v[6:9], v[14:15], off offset:1280
	ds_read_b128 v[2:5], v232 offset:5376
	ds_write_b128 v232, v[10:13] offset:4480
	;; [unrolled: 8-line block ×3, first 2 shown]
	s_waitcnt vmcnt(0) lgkmcnt(1)
	v_mul_f64 v[10:11], v[4:5], v[8:9]
	v_fma_f64 v[10:11], v[2:3], v[6:7], -v[10:11]
	v_mul_f64 v[2:3], v[2:3], v[8:9]
	v_fma_f64 v[12:13], v[4:5], v[6:7], v[2:3]
	v_or_b32_e32 v6, 0x1c00, v16
	global_load_dwordx4 v[6:9], v6, s[10:11]
	ds_read_b128 v[2:5], v232 offset:7168
	ds_write_b128 v232, v[10:13] offset:6272
	s_waitcnt vmcnt(0) lgkmcnt(1)
	v_mul_f64 v[10:11], v[4:5], v[8:9]
	v_fma_f64 v[10:11], v[2:3], v[6:7], -v[10:11]
	v_mul_f64 v[2:3], v[2:3], v[8:9]
	v_fma_f64 v[12:13], v[4:5], v[6:7], v[2:3]
	global_load_dwordx4 v[6:9], v[14:15], off offset:3968
	ds_read_b128 v[2:5], v232 offset:8064
	v_add_co_u32_e64 v14, s[2:3], s2, v1
	v_addc_co_u32_e64 v15, s[2:3], 0, v0, s[2:3]
	s_movk_i32 s2, 0x3000
	ds_write_b128 v232, v[10:13] offset:7168
	s_waitcnt vmcnt(0) lgkmcnt(1)
	v_mul_f64 v[10:11], v[4:5], v[8:9]
	v_fma_f64 v[10:11], v[2:3], v[6:7], -v[10:11]
	v_mul_f64 v[2:3], v[2:3], v[8:9]
	v_fma_f64 v[12:13], v[4:5], v[6:7], v[2:3]
	global_load_dwordx4 v[6:9], v[14:15], off offset:768
	ds_read_b128 v[2:5], v232 offset:8960
	ds_write_b128 v232, v[10:13] offset:8064
	s_waitcnt vmcnt(0) lgkmcnt(1)
	v_mul_f64 v[10:11], v[4:5], v[8:9]
	v_fma_f64 v[10:11], v[2:3], v[6:7], -v[10:11]
	v_mul_f64 v[2:3], v[2:3], v[8:9]
	v_fma_f64 v[12:13], v[4:5], v[6:7], v[2:3]
	global_load_dwordx4 v[6:9], v[14:15], off offset:1664
	ds_read_b128 v[2:5], v232 offset:9856
	;; [unrolled: 8-line block ×4, first 2 shown]
	ds_write_b128 v232, v[10:13] offset:10752
	s_waitcnt vmcnt(0) lgkmcnt(1)
	v_mul_f64 v[10:11], v[4:5], v[8:9]
	v_fma_f64 v[10:11], v[2:3], v[6:7], -v[10:11]
	v_mul_f64 v[2:3], v[2:3], v[8:9]
	v_fma_f64 v[12:13], v[4:5], v[6:7], v[2:3]
	ds_read_b128 v[2:5], v232 offset:12544
	ds_write_b128 v232, v[10:13] offset:11648
	v_add_co_u32_e64 v10, s[2:3], s2, v1
	v_addc_co_u32_e64 v11, s[2:3], 0, v0, s[2:3]
	global_load_dwordx4 v[6:9], v[10:11], off offset:256
	s_waitcnt vmcnt(0) lgkmcnt(1)
	v_mul_f64 v[0:1], v[4:5], v[8:9]
	v_fma_f64 v[0:1], v[2:3], v[6:7], -v[0:1]
	v_mul_f64 v[2:3], v[2:3], v[8:9]
	v_fma_f64 v[2:3], v[4:5], v[6:7], v[2:3]
	global_load_dwordx4 v[4:7], v[10:11], off offset:1152
	ds_write_b128 v232, v[0:3] offset:12544
	ds_read_b128 v[0:3], v232 offset:13440
	s_waitcnt vmcnt(0) lgkmcnt(0)
	v_mul_f64 v[8:9], v[2:3], v[6:7]
	v_fma_f64 v[8:9], v[0:1], v[4:5], -v[8:9]
	v_mul_f64 v[0:1], v[0:1], v[6:7]
	v_fma_f64 v[10:11], v[2:3], v[4:5], v[0:1]
	v_or_b32_e32 v4, 0x3800, v16
	global_load_dwordx4 v[4:7], v4, s[10:11]
	ds_read_b128 v[0:3], v232 offset:14336
	ds_write_b128 v232, v[8:11] offset:13440
	s_waitcnt vmcnt(0) lgkmcnt(1)
	v_mul_f64 v[8:9], v[2:3], v[6:7]
	v_fma_f64 v[8:9], v[0:1], v[4:5], -v[8:9]
	v_mul_f64 v[0:1], v[0:1], v[6:7]
	v_fma_f64 v[10:11], v[2:3], v[4:5], v[0:1]
	ds_write_b128 v232, v[8:11] offset:14336
.LBB0_13:
	s_or_b64 exec, exec, s[8:9]
	s_waitcnt lgkmcnt(0)
	s_barrier
	s_and_saveexec_b64 s[2:3], vcc
	s_cbranch_execz .LBB0_15
; %bb.14:
	ds_read_b128 v[132:135], v46
	ds_read_b128 v[136:139], v46 offset:896
	ds_read_b128 v[140:143], v46 offset:1792
	;; [unrolled: 1-line block ×16, first 2 shown]
.LBB0_15:
	s_or_b64 exec, exec, s[2:3]
	s_waitcnt lgkmcnt(0)
	buffer_store_dword v198, off, s[64:67], 0 offset:20 ; 4-byte Folded Spill
	s_nop 0
	buffer_store_dword v199, off, s[64:67], 0 offset:24 ; 4-byte Folded Spill
	buffer_store_dword v200, off, s[64:67], 0 offset:28 ; 4-byte Folded Spill
	;; [unrolled: 1-line block ×3, first 2 shown]
	s_mov_b32 s8, 0x2b2883cd
	s_mov_b32 s9, 0x3fdc86fa
	v_add_f64 v[241:242], v[142:143], -v[130:131]
	v_add_f64 v[243:244], v[130:131], v[142:143]
	s_mov_b32 s16, 0x3259b75e
	s_mov_b32 s20, 0xeb564b22
	;; [unrolled: 1-line block ×8, first 2 shown]
	v_mul_f64 v[16:17], v[241:242], s[28:29]
	v_mul_f64 v[18:19], v[243:244], s[26:27]
	s_mov_b32 s18, 0x7c9e640b
	s_mov_b32 s19, 0xbfeca52d
	v_add_f64 v[239:240], v[128:129], v[140:141]
	v_add_f64 v[214:215], v[140:141], -v[128:129]
	s_mov_b32 s30, 0xacd6c6b4
	s_mov_b32 s31, 0xbfc7851a
	v_mul_f64 v[20:21], v[241:242], s[30:31]
	v_add_f64 v[249:250], v[146:147], -v[126:127]
	v_add_f64 v[247:248], v[146:147], v[126:127]
	s_mov_b32 s22, 0x7faef3
	s_mov_b32 s23, 0xbfef7484
	s_mov_b32 s53, 0x3fc7851a
	s_mov_b32 s52, s30
	v_mul_f64 v[22:23], v[243:244], s[22:23]
	v_add_f64 v[208:209], v[144:145], -v[124:125]
	s_mov_b32 s36, 0x923c349f
	s_mov_b32 s37, 0xbfeec746
	;; [unrolled: 1-line block ×4, first 2 shown]
	v_add_f64 v[206:207], v[150:151], -v[186:187]
	s_mov_b32 s24, 0xc61f0d01
	s_mov_b32 s25, 0xbfd183b1
	s_mov_b32 s2, 0x75d4884
	s_mov_b32 s10, 0x2a9d6da3
	s_mov_b32 s3, 0x3fe7a5f6
	s_mov_b32 s11, 0xbfe58eea
	v_mul_f64 v[49:50], v[241:242], s[20:21]
	v_mul_f64 v[60:61], v[243:244], s[16:17]
	v_add_f64 v[245:246], v[144:145], v[124:125]
	v_mul_f64 v[62:63], v[249:250], s[28:29]
	v_mul_f64 v[66:67], v[247:248], s[26:27]
	v_add_f64 v[204:205], v[150:151], v[186:187]
	v_add_f64 v[253:254], v[148:149], v[184:185]
	v_add_f64 v[216:217], v[148:149], -v[184:185]
	v_fma_f64 v[12:13], v[239:240], s[16:17], -v[49:50]
	v_fma_f64 v[14:15], v[214:215], s[20:21], v[60:61]
	v_mul_f64 v[56:57], v[206:207], s[30:31]
	s_mov_b32 s38, 0x370991
	s_mov_b32 s50, 0x5d8e7cdc
	v_mul_f64 v[77:78], v[204:205], s[22:23]
	s_mov_b32 s39, 0x3fedd6d0
	s_mov_b32 s51, 0x3fd71e95
	v_add_f64 v[218:219], v[154:155], -v[182:183]
	v_add_f64 v[212:213], v[182:183], v[154:155]
	s_mov_b32 s34, 0x910ea3b9
	s_mov_b32 s35, 0xbfeb34fa
	;; [unrolled: 1-line block ×4, first 2 shown]
	v_add_f64 v[210:211], v[180:181], v[152:153]
	v_add_f64 v[220:221], v[162:163], -v[178:179]
	v_mul_f64 v[26:27], v[218:219], s[18:19]
	v_mul_f64 v[24:25], v[212:213], s[2:3]
	;; [unrolled: 1-line block ×3, first 2 shown]
	s_mov_b32 s41, 0xbfd71e95
	s_mov_b32 s40, s50
	s_mov_b32 s43, 0xbfe0d888
	s_mov_b32 s42, s46
	v_mul_f64 v[28:29], v[220:221], s[40:41]
	v_mul_f64 v[75:76], v[220:221], s[48:49]
	v_add_f64 v[222:223], v[158:159], v[174:175]
	s_mov_b32 s58, s28
	s_mov_b32 s57, 0x3feca52d
	v_add_f64 v[235:236], v[200:201], v[138:139]
	v_add_f64 v[237:238], v[138:139], -v[200:201]
	v_add_f64 v[233:234], v[198:199], v[136:137]
	v_add_f64 v[251:252], v[136:137], -v[198:199]
	s_mov_b32 s56, s18
	v_mul_f64 v[36:37], v[222:223], s[8:9]
	v_add_f64 v[224:225], v[156:157], -v[172:173]
	v_add_f64 v[226:227], v[166:167], -v[170:171]
	v_mul_f64 v[6:7], v[235:236], s[8:9]
	v_mul_f64 v[8:9], v[237:238], s[20:21]
	;; [unrolled: 1-line block ×8, first 2 shown]
	buffer_store_dword v6, off, s[64:67], 0 offset:380 ; 4-byte Folded Spill
	s_nop 0
	buffer_store_dword v7, off, s[64:67], 0 offset:384 ; 4-byte Folded Spill
	buffer_store_dword v8, off, s[64:67], 0 offset:412 ; 4-byte Folded Spill
	s_nop 0
	buffer_store_dword v9, off, s[64:67], 0 offset:416 ; 4-byte Folded Spill
	;; [unrolled: 3-line block ×5, first 2 shown]
	v_fma_f64 v[4:5], v[233:234], s[8:9], -v[79:80]
	buffer_store_dword v20, off, s[64:67], 0 offset:476 ; 4-byte Folded Spill
	s_nop 0
	buffer_store_dword v21, off, s[64:67], 0 offset:480 ; 4-byte Folded Spill
	buffer_store_dword v22, off, s[64:67], 0 offset:500 ; 4-byte Folded Spill
	s_nop 0
	buffer_store_dword v23, off, s[64:67], 0 offset:504 ; 4-byte Folded Spill
	v_fma_f64 v[0:1], v[233:234], s[2:3], -v[47:48]
	v_fma_f64 v[2:3], v[251:252], s[10:11], v[58:59]
	v_mul_f64 v[38:39], v[237:238], s[36:37]
	v_add_f64 v[228:229], v[164:165], -v[168:169]
	v_mul_f64 v[230:231], v[206:207], s[18:19]
	v_add_f64 v[4:5], v[132:133], v[4:5]
	s_mov_b32 s61, 0x3fefdd0d
	s_mov_b32 s60, s20
	v_add_f64 v[0:1], v[132:133], v[0:1]
	v_add_f64 v[2:3], v[134:135], v[2:3]
	;; [unrolled: 1-line block ×4, first 2 shown]
	v_fma_f64 v[12:13], v[245:246], s[26:27], -v[62:63]
	v_fma_f64 v[14:15], v[208:209], s[28:29], v[66:67]
	v_add_f64 v[0:1], v[12:13], v[0:1]
	v_add_f64 v[2:3], v[14:15], v[2:3]
	v_fma_f64 v[14:15], v[253:254], s[22:23], -v[56:57]
	v_add_f64 v[0:1], v[14:15], v[0:1]
	v_mul_f64 v[14:15], v[204:205], s[24:25]
	v_fma_f64 v[6:7], v[251:252], s[18:19], v[6:7]
	v_fma_f64 v[8:9], v[233:234], s[16:17], -v[8:9]
	v_fma_f64 v[10:11], v[251:252], s[20:21], v[10:11]
	v_fma_f64 v[16:17], v[239:240], s[26:27], -v[16:17]
	;; [unrolled: 2-line block ×3, first 2 shown]
	v_fma_f64 v[22:23], v[214:215], s[30:31], v[22:23]
	v_add_f64 v[6:7], v[134:135], v[6:7]
	v_add_f64 v[8:9], v[132:133], v[8:9]
	;; [unrolled: 1-line block ×4, first 2 shown]
	v_mul_f64 v[16:17], v[249:250], s[52:53]
	buffer_store_dword v16, off, s[64:67], 0 offset:436 ; 4-byte Folded Spill
	s_nop 0
	buffer_store_dword v17, off, s[64:67], 0 offset:440 ; 4-byte Folded Spill
	v_add_f64 v[6:7], v[18:19], v[6:7]
	v_mul_f64 v[18:19], v[247:248], s[22:23]
	v_add_f64 v[8:9], v[20:21], v[8:9]
	buffer_store_dword v18, off, s[64:67], 0 offset:460 ; 4-byte Folded Spill
	s_nop 0
	buffer_store_dword v19, off, s[64:67], 0 offset:464 ; 4-byte Folded Spill
	v_mul_f64 v[20:21], v[249:250], s[48:49]
	v_add_f64 v[10:11], v[22:23], v[10:11]
	v_mul_f64 v[22:23], v[247:248], s[24:25]
	buffer_store_dword v20, off, s[64:67], 0 offset:540 ; 4-byte Folded Spill
	s_nop 0
	buffer_store_dword v21, off, s[64:67], 0 offset:544 ; 4-byte Folded Spill
	buffer_store_dword v22, off, s[64:67], 0 offset:572 ; 4-byte Folded Spill
	s_nop 0
	buffer_store_dword v23, off, s[64:67], 0 offset:576 ; 4-byte Folded Spill
	v_fma_f64 v[16:17], v[245:246], s[22:23], -v[16:17]
	v_add_f64 v[4:5], v[16:17], v[4:5]
	v_fma_f64 v[16:17], v[216:217], s[30:31], v[77:78]
	v_fma_f64 v[18:19], v[208:209], s[52:53], v[18:19]
	v_add_f64 v[2:3], v[16:17], v[2:3]
	v_add_f64 v[6:7], v[18:19], v[6:7]
	v_mul_f64 v[18:19], v[206:207], s[48:49]
	buffer_store_dword v18, off, s[64:67], 0 offset:468 ; 4-byte Folded Spill
	s_nop 0
	buffer_store_dword v19, off, s[64:67], 0 offset:472 ; 4-byte Folded Spill
	v_fma_f64 v[12:13], v[245:246], s[24:25], -v[20:21]
	v_fma_f64 v[20:21], v[208:209], s[48:49], v[22:23]
	v_mul_f64 v[16:17], v[206:207], s[50:51]
	buffer_store_dword v14, off, s[64:67], 0 offset:508 ; 4-byte Folded Spill
	s_nop 0
	buffer_store_dword v15, off, s[64:67], 0 offset:512 ; 4-byte Folded Spill
	buffer_store_dword v16, off, s[64:67], 0 offset:596 ; 4-byte Folded Spill
	s_nop 0
	buffer_store_dword v17, off, s[64:67], 0 offset:600 ; 4-byte Folded Spill
	v_add_f64 v[12:13], v[12:13], v[8:9]
	v_add_f64 v[10:11], v[20:21], v[10:11]
	v_mul_f64 v[20:21], v[212:213], s[34:35]
	v_mul_f64 v[22:23], v[218:219], s[54:55]
	v_fma_f64 v[8:9], v[253:254], s[24:25], -v[18:19]
	v_mul_f64 v[18:19], v[204:205], s[38:39]
	buffer_store_dword v18, off, s[64:67], 0 offset:612 ; 4-byte Folded Spill
	s_nop 0
	buffer_store_dword v19, off, s[64:67], 0 offset:616 ; 4-byte Folded Spill
	buffer_store_dword v20, off, s[64:67], 0 offset:396 ; 4-byte Folded Spill
	s_nop 0
	buffer_store_dword v21, off, s[64:67], 0 offset:400 ; 4-byte Folded Spill
	;; [unrolled: 3-line block ×4, first 2 shown]
	v_add_f64 v[4:5], v[8:9], v[4:5]
	v_add_f64 v[8:9], v[152:153], -v[180:181]
	buffer_store_dword v26, off, s[64:67], 0 offset:604 ; 4-byte Folded Spill
	s_nop 0
	buffer_store_dword v27, off, s[64:67], 0 offset:608 ; 4-byte Folded Spill
	v_fma_f64 v[14:15], v[216:217], s[48:49], v[14:15]
	v_fma_f64 v[16:17], v[253:254], s[38:39], -v[16:17]
	v_add_f64 v[14:15], v[14:15], v[6:7]
	v_fma_f64 v[6:7], v[210:211], s[34:35], -v[64:65]
	v_add_f64 v[12:13], v[16:17], v[12:13]
	v_add_f64 v[0:1], v[6:7], v[0:1]
	v_add_f64 v[6:7], v[178:179], v[162:163]
	v_mul_f64 v[30:31], v[6:7], s[38:39]
	v_mul_f64 v[34:35], v[6:7], s[34:35]
	v_fma_f64 v[18:19], v[216:217], s[50:51], v[18:19]
	v_fma_f64 v[20:21], v[8:9], s[46:47], v[20:21]
	v_fma_f64 v[16:17], v[210:211], s[2:3], -v[22:23]
	v_fma_f64 v[22:23], v[210:211], s[8:9], -v[26:27]
	v_mul_f64 v[26:27], v[6:7], s[24:25]
	v_add_f64 v[10:11], v[18:19], v[10:11]
	v_fma_f64 v[18:19], v[8:9], s[54:55], v[24:25]
	v_mul_f64 v[24:25], v[212:213], s[8:9]
	buffer_store_dword v24, off, s[64:67], 0 offset:628 ; 4-byte Folded Spill
	s_nop 0
	buffer_store_dword v25, off, s[64:67], 0 offset:632 ; 4-byte Folded Spill
	v_add_f64 v[20:21], v[20:21], v[2:3]
	v_add_f64 v[14:15], v[18:19], v[14:15]
	;; [unrolled: 1-line block ×3, first 2 shown]
	buffer_store_dword v26, off, s[64:67], 0 offset:428 ; 4-byte Folded Spill
	s_nop 0
	buffer_store_dword v27, off, s[64:67], 0 offset:432 ; 4-byte Folded Spill
	buffer_store_dword v28, off, s[64:67], 0 offset:516 ; 4-byte Folded Spill
	s_nop 0
	buffer_store_dword v29, off, s[64:67], 0 offset:520 ; 4-byte Folded Spill
	;; [unrolled: 3-line block ×3, first 2 shown]
	v_add_f64 v[16:17], v[16:17], v[4:5]
	v_add_f64 v[4:5], v[176:177], v[160:161]
	v_add_f64 v[12:13], v[160:161], -v[176:177]
	v_fma_f64 v[2:3], v[8:9], s[18:19], v[24:25]
	v_fma_f64 v[24:25], v[4:5], s[24:25], -v[75:76]
	v_fma_f64 v[26:27], v[12:13], s[48:49], v[26:27]
	v_fma_f64 v[28:29], v[4:5], s[38:39], -v[28:29]
	v_fma_f64 v[30:31], v[12:13], s[40:41], v[30:31]
	v_add_f64 v[22:23], v[2:3], v[10:11]
	v_mul_f64 v[10:11], v[220:221], s[42:43]
	buffer_store_dword v10, off, s[64:67], 0 offset:636 ; 4-byte Folded Spill
	s_nop 0
	buffer_store_dword v11, off, s[64:67], 0 offset:640 ; 4-byte Folded Spill
	buffer_store_dword v34, off, s[64:67], 0 offset:652 ; 4-byte Folded Spill
	s_nop 0
	buffer_store_dword v35, off, s[64:67], 0 offset:656 ; 4-byte Folded Spill
	v_add_f64 v[2:3], v[158:159], -v[174:175]
	v_add_f64 v[0:1], v[24:25], v[0:1]
	v_add_f64 v[24:25], v[30:31], v[14:15]
	buffer_store_dword v36, off, s[64:67], 0 offset:492 ; 4-byte Folded Spill
	s_nop 0
	buffer_store_dword v37, off, s[64:67], 0 offset:496 ; 4-byte Folded Spill
	v_add_f64 v[20:21], v[26:27], v[20:21]
	v_add_f64 v[16:17], v[28:29], v[16:17]
	v_mul_f64 v[30:31], v[2:3], s[20:21]
	buffer_store_dword v30, off, s[64:67], 0 offset:556 ; 4-byte Folded Spill
	s_nop 0
	buffer_store_dword v31, off, s[64:67], 0 offset:560 ; 4-byte Folded Spill
	v_mul_f64 v[81:82], v[2:3], s[56:57]
	v_fma_f64 v[32:33], v[4:5], s[34:35], -v[10:11]
	v_fma_f64 v[34:35], v[12:13], s[42:43], v[34:35]
	v_add_f64 v[10:11], v[156:157], v[172:173]
	v_fma_f64 v[26:27], v[224:225], s[56:57], v[36:37]
	v_add_f64 v[18:19], v[32:33], v[18:19]
	v_add_f64 v[22:23], v[34:35], v[22:23]
	v_mul_f64 v[32:33], v[222:223], s[16:17]
	v_mul_f64 v[34:35], v[2:3], s[58:59]
	buffer_store_dword v32, off, s[64:67], 0 offset:588 ; 4-byte Folded Spill
	s_nop 0
	buffer_store_dword v33, off, s[64:67], 0 offset:592 ; 4-byte Folded Spill
	buffer_store_dword v34, off, s[64:67], 0 offset:644 ; 4-byte Folded Spill
	s_nop 0
	buffer_store_dword v35, off, s[64:67], 0 offset:648 ; 4-byte Folded Spill
	v_fma_f64 v[14:15], v[10:11], s[8:9], -v[81:82]
	v_add_f64 v[20:21], v[26:27], v[20:21]
	v_fma_f64 v[26:27], v[10:11], s[16:17], -v[30:31]
	buffer_store_dword v44, off, s[64:67], 0 offset:660 ; 4-byte Folded Spill
	s_nop 0
	buffer_store_dword v45, off, s[64:67], 0 offset:664 ; 4-byte Folded Spill
	v_add_f64 v[28:29], v[14:15], v[0:1]
	v_add_f64 v[14:15], v[166:167], v[170:171]
	v_add_f64 v[0:1], v[164:165], v[168:169]
	v_add_f64 v[16:17], v[26:27], v[16:17]
	v_mul_f64 v[36:37], v[14:15], s[38:39]
	v_mul_f64 v[42:43], v[14:15], s[34:35]
	v_fma_f64 v[30:31], v[224:225], s[20:21], v[32:33]
	v_fma_f64 v[32:33], v[10:11], s[26:27], -v[34:35]
	v_mul_f64 v[34:35], v[226:227], s[50:51]
	buffer_store_dword v34, off, s[64:67], 0 offset:404 ; 4-byte Folded Spill
	s_nop 0
	buffer_store_dword v35, off, s[64:67], 0 offset:408 ; 4-byte Folded Spill
	buffer_store_dword v36, off, s[64:67], 0 offset:564 ; 4-byte Folded Spill
	s_nop 0
	buffer_store_dword v37, off, s[64:67], 0 offset:568 ; 4-byte Folded Spill
	;; [unrolled: 3-line block ×4, first 2 shown]
	v_add_f64 v[24:25], v[30:31], v[24:25]
	v_add_f64 v[18:19], v[32:33], v[18:19]
	buffer_store_dword v38, off, s[64:67], 0 offset:532 ; 4-byte Folded Spill
	s_nop 0
	buffer_store_dword v39, off, s[64:67], 0 offset:536 ; 4-byte Folded Spill
	v_fma_f64 v[26:27], v[224:225], s[58:59], v[44:45]
	v_add_f64 v[22:23], v[26:27], v[22:23]
	v_fma_f64 v[30:31], v[0:1], s[38:39], -v[34:35]
	v_fma_f64 v[32:33], v[228:229], s[50:51], v[36:37]
	v_fma_f64 v[34:35], v[0:1], s[34:35], -v[40:41]
	v_mul_f64 v[40:41], v[226:227], s[54:55]
	v_fma_f64 v[36:37], v[228:229], s[42:43], v[42:43]
	v_mul_f64 v[42:43], v[14:15], s[2:3]
	buffer_store_dword v40, off, s[64:67], 0 offset:668 ; 4-byte Folded Spill
	s_nop 0
	buffer_store_dword v41, off, s[64:67], 0 offset:672 ; 4-byte Folded Spill
	buffer_store_dword v42, off, s[64:67], 0 offset:676 ; 4-byte Folded Spill
	s_nop 0
	buffer_store_dword v43, off, s[64:67], 0 offset:680 ; 4-byte Folded Spill
	v_add_f64 v[196:197], v[30:31], v[28:29]
	v_mul_f64 v[28:29], v[241:242], s[46:47]
	buffer_store_dword v28, off, s[64:67], 0 offset:684 ; 4-byte Folded Spill
	s_nop 0
	buffer_store_dword v29, off, s[64:67], 0 offset:688 ; 4-byte Folded Spill
	v_add_f64 v[188:189], v[34:35], v[16:17]
	v_add_f64 v[190:191], v[36:37], v[24:25]
	v_mul_f64 v[24:25], v[235:236], s[24:25]
	v_add_f64 v[198:199], v[32:33], v[20:21]
	v_mul_f64 v[30:31], v[243:244], s[34:35]
	v_fma_f64 v[26:27], v[233:234], s[24:25], -v[38:39]
	v_mul_f64 v[34:35], v[247:248], s[2:3]
	v_mul_f64 v[32:33], v[204:205], s[8:9]
	;; [unrolled: 1-line block ×3, first 2 shown]
	s_waitcnt vmcnt(0)
	s_barrier
	v_add_f64 v[26:27], v[132:133], v[26:27]
	v_fma_f64 v[16:17], v[0:1], s[2:3], -v[40:41]
	v_fma_f64 v[20:21], v[228:229], s[54:55], v[42:43]
	v_add_f64 v[192:193], v[16:17], v[18:19]
	v_fma_f64 v[18:19], v[251:252], s[36:37], v[24:25]
	v_add_f64 v[194:195], v[20:21], v[22:23]
	v_fma_f64 v[20:21], v[214:215], s[46:47], v[30:31]
	v_fma_f64 v[16:17], v[239:240], s[34:35], -v[28:29]
	v_add_f64 v[18:19], v[134:135], v[18:19]
	v_add_f64 v[16:17], v[16:17], v[26:27]
	v_fma_f64 v[26:27], v[253:254], s[8:9], -v[230:231]
	v_add_f64 v[20:21], v[20:21], v[18:19]
	v_mul_f64 v[18:19], v[249:250], s[54:55]
	v_fma_f64 v[22:23], v[245:246], s[2:3], -v[18:19]
	v_add_f64 v[22:23], v[22:23], v[16:17]
	v_fma_f64 v[16:17], v[208:209], s[54:55], v[34:35]
	v_add_f64 v[22:23], v[26:27], v[22:23]
	v_add_f64 v[20:21], v[16:17], v[20:21]
	v_fma_f64 v[26:27], v[216:217], s[18:19], v[32:33]
	v_add_f64 v[26:27], v[26:27], v[20:21]
	v_mul_f64 v[20:21], v[218:219], s[30:31]
	v_fma_f64 v[28:29], v[210:211], s[22:23], -v[20:21]
	v_add_f64 v[28:29], v[28:29], v[22:23]
	v_fma_f64 v[22:23], v[8:9], s[30:31], v[36:37]
	v_add_f64 v[26:27], v[22:23], v[26:27]
	v_mul_f64 v[22:23], v[220:221], s[60:61]
	v_fma_f64 v[38:39], v[4:5], s[16:17], -v[22:23]
	v_add_f64 v[28:29], v[38:39], v[28:29]
	v_mul_f64 v[38:39], v[6:7], s[16:17]
	v_fma_f64 v[40:41], v[12:13], s[60:61], v[38:39]
	v_add_f64 v[42:43], v[40:41], v[26:27]
	v_mul_f64 v[26:27], v[2:3], s[40:41]
	v_fma_f64 v[40:41], v[10:11], s[38:39], -v[26:27]
	v_add_f64 v[200:201], v[40:41], v[28:29]
	v_mul_f64 v[40:41], v[222:223], s[38:39]
	;; [unrolled: 6-line block ×3, first 2 shown]
	v_fma_f64 v[44:45], v[228:229], s[28:29], v[42:43]
	v_add_f64 v[202:203], v[44:45], v[202:203]
	s_mov_b64 s[44:45], exec
	s_and_b64 s[62:63], s[44:45], vcc
	buffer_store_dword v46, off, s[64:67], 0 offset:324 ; 4-byte Folded Spill
	s_mov_b64 exec, s[62:63]
	s_cbranch_execz .LBB0_17
; %bb.16:
	v_mul_f64 v[44:45], v[251:252], s[30:31]
	buffer_store_dword v47, off, s[64:67], 0 offset:836 ; 4-byte Folded Spill
	s_nop 0
	buffer_store_dword v48, off, s[64:67], 0 offset:840 ; 4-byte Folded Spill
	buffer_store_dword v49, off, s[64:67], 0 offset:820 ; 4-byte Folded Spill
	s_nop 0
	buffer_store_dword v50, off, s[64:67], 0 offset:824 ; 4-byte Folded Spill
	v_mul_f64 v[48:49], v[214:215], s[50:51]
	buffer_store_dword v51, off, s[64:67], 0 offset:692 ; 4-byte Folded Spill
	buffer_store_dword v56, off, s[64:67], 0 offset:756 ; 4-byte Folded Spill
	s_nop 0
	buffer_store_dword v57, off, s[64:67], 0 offset:760 ; 4-byte Folded Spill
	buffer_store_dword v58, off, s[64:67], 0 offset:884 ; 4-byte Folded Spill
	s_nop 0
	buffer_store_dword v59, off, s[64:67], 0 offset:888 ; 4-byte Folded Spill
	v_mul_f64 v[58:59], v[241:242], s[50:51]
	v_fma_f64 v[46:47], v[235:236], s[22:23], v[44:45]
	buffer_store_dword v60, off, s[64:67], 0 offset:876 ; 4-byte Folded Spill
	s_nop 0
	buffer_store_dword v61, off, s[64:67], 0 offset:880 ; 4-byte Folded Spill
	buffer_store_dword v62, off, s[64:67], 0 offset:828 ; 4-byte Folded Spill
	s_nop 0
	buffer_store_dword v63, off, s[64:67], 0 offset:832 ; 4-byte Folded Spill
	v_fma_f64 v[50:51], v[243:244], s[38:39], v[48:49]
	buffer_store_dword v64, off, s[64:67], 0 offset:780 ; 4-byte Folded Spill
	s_nop 0
	buffer_store_dword v65, off, s[64:67], 0 offset:784 ; 4-byte Folded Spill
	buffer_store_dword v66, off, s[64:67], 0 offset:868 ; 4-byte Folded Spill
	s_nop 0
	buffer_store_dword v67, off, s[64:67], 0 offset:872 ; 4-byte Folded Spill
	buffer_store_dword v68, off, s[64:67], 0 offset:696 ; 4-byte Folded Spill
	;; [unrolled: 1-line block ×3, first 2 shown]
	v_fma_f64 v[60:61], v[239:240], s[38:39], -v[58:59]
	v_add_f64 v[46:47], v[134:135], v[46:47]
	buffer_store_dword v70, off, s[64:67], 0 offset:704 ; 4-byte Folded Spill
	buffer_store_dword v71, off, s[64:67], 0 offset:708 ; 4-byte Folded Spill
	s_nop 0
	buffer_store_dword v72, off, s[64:67], 0 offset:712 ; 4-byte Folded Spill
	buffer_store_dword v73, off, s[64:67], 0 offset:716 ; 4-byte Folded Spill
	;; [unrolled: 1-line block ×3, first 2 shown]
	v_fma_f64 v[44:45], v[235:236], s[22:23], -v[44:45]
	v_fma_f64 v[48:49], v[243:244], s[38:39], -v[48:49]
	buffer_store_dword v75, off, s[64:67], 0 offset:788 ; 4-byte Folded Spill
	s_nop 0
	buffer_store_dword v76, off, s[64:67], 0 offset:792 ; 4-byte Folded Spill
	buffer_store_dword v77, off, s[64:67], 0 offset:860 ; 4-byte Folded Spill
	s_nop 0
	buffer_store_dword v78, off, s[64:67], 0 offset:864 ; 4-byte Folded Spill
	;; [unrolled: 3-line block ×4, first 2 shown]
	v_add_f64 v[46:47], v[50:51], v[46:47]
	v_mul_f64 v[50:51], v[237:238], s[30:31]
	v_add_f64 v[44:45], v[134:135], v[44:45]
	buffer_store_dword v18, off, s[64:67], 0 offset:900 ; 4-byte Folded Spill
	s_nop 0
	buffer_store_dword v19, off, s[64:67], 0 offset:904 ; 4-byte Folded Spill
	v_mov_b32_e32 v16, v120
	v_mov_b32_e32 v17, v121
	;; [unrolled: 1-line block ×5, first 2 shown]
	v_fma_f64 v[56:57], v[233:234], s[22:23], -v[50:51]
	v_add_f64 v[44:45], v[48:49], v[44:45]
	v_fma_f64 v[48:49], v[233:234], s[22:23], v[50:51]
	v_fma_f64 v[50:51], v[239:240], s[38:39], v[58:59]
	v_mov_b32_e32 v122, v118
	v_mov_b32_e32 v121, v117
	;; [unrolled: 1-line block ×4, first 2 shown]
	v_add_f64 v[56:57], v[132:133], v[56:57]
	v_mov_b32_e32 v118, v114
	v_add_f64 v[48:49], v[132:133], v[48:49]
	v_mov_b32_e32 v117, v113
	v_mov_b32_e32 v116, v112
	;; [unrolled: 1-line block ×5, first 2 shown]
	v_add_f64 v[56:57], v[60:61], v[56:57]
	v_mul_f64 v[60:61], v[208:209], s[42:43]
	v_add_f64 v[48:49], v[50:51], v[48:49]
	v_mov_b32_e32 v112, v108
	v_mov_b32_e32 v111, v107
	;; [unrolled: 1-line block ×6, first 2 shown]
	v_fma_f64 v[62:63], v[247:248], s[34:35], v[60:61]
	v_fma_f64 v[50:51], v[247:248], s[34:35], -v[60:61]
	v_mov_b32_e32 v106, v102
	v_mov_b32_e32 v105, v101
	;; [unrolled: 1-line block ×6, first 2 shown]
	v_add_f64 v[46:47], v[62:63], v[46:47]
	v_mul_f64 v[62:63], v[249:250], s[42:43]
	v_add_f64 v[44:45], v[50:51], v[44:45]
	v_mov_b32_e32 v100, v96
	v_mov_b32_e32 v99, v95
	;; [unrolled: 1-line block ×6, first 2 shown]
	v_fma_f64 v[64:65], v[245:246], s[34:35], -v[62:63]
	v_fma_f64 v[50:51], v[245:246], s[34:35], v[62:63]
	v_mov_b32_e32 v94, v90
	v_mov_b32_e32 v93, v89
	;; [unrolled: 1-line block ×6, first 2 shown]
	v_add_f64 v[56:57], v[64:65], v[56:57]
	v_mul_f64 v[64:65], v[216:217], s[54:55]
	v_add_f64 v[48:49], v[50:51], v[48:49]
	v_mov_b32_e32 v88, v84
	v_fma_f64 v[66:67], v[204:205], s[2:3], v[64:65]
	v_fma_f64 v[50:51], v[204:205], s[2:3], -v[64:65]
	v_add_f64 v[46:47], v[66:67], v[46:47]
	v_mul_f64 v[66:67], v[206:207], s[54:55]
	v_add_f64 v[44:45], v[50:51], v[44:45]
	v_fma_f64 v[68:69], v[253:254], s[2:3], -v[66:67]
	v_fma_f64 v[50:51], v[253:254], s[2:3], v[66:67]
	v_add_f64 v[56:57], v[68:69], v[56:57]
	v_mul_f64 v[68:69], v[8:9], s[28:29]
	v_add_f64 v[48:49], v[50:51], v[48:49]
	v_fma_f64 v[70:71], v[212:213], s[26:27], v[68:69]
	v_fma_f64 v[50:51], v[212:213], s[26:27], -v[68:69]
	v_mul_f64 v[68:69], v[241:242], s[56:57]
	v_add_f64 v[46:47], v[70:71], v[46:47]
	v_mul_f64 v[70:71], v[218:219], s[28:29]
	v_add_f64 v[44:45], v[50:51], v[44:45]
	v_fma_f64 v[72:73], v[210:211], s[26:27], -v[70:71]
	v_fma_f64 v[50:51], v[210:211], s[26:27], v[70:71]
	v_fma_f64 v[70:71], v[239:240], s[8:9], -v[68:69]
	v_add_f64 v[56:57], v[72:73], v[56:57]
	v_mul_f64 v[72:73], v[12:13], s[56:57]
	v_add_f64 v[48:49], v[50:51], v[48:49]
	v_fma_f64 v[74:75], v[6:7], s[8:9], v[72:73]
	v_fma_f64 v[50:51], v[6:7], s[8:9], -v[72:73]
	v_add_f64 v[46:47], v[74:75], v[46:47]
	v_mul_f64 v[74:75], v[220:221], s[56:57]
	v_add_f64 v[44:45], v[50:51], v[44:45]
	v_fma_f64 v[76:77], v[4:5], s[8:9], -v[74:75]
	v_add_f64 v[56:57], v[76:77], v[56:57]
	v_mul_f64 v[76:77], v[224:225], s[36:37]
	v_fma_f64 v[78:79], v[222:223], s[24:25], v[76:77]
	v_fma_f64 v[50:51], v[222:223], s[24:25], -v[76:77]
	v_add_f64 v[46:47], v[78:79], v[46:47]
	v_mul_f64 v[78:79], v[2:3], s[36:37]
	v_add_f64 v[44:45], v[50:51], v[44:45]
	v_fma_f64 v[50:51], v[4:5], s[8:9], v[74:75]
	v_fma_f64 v[80:81], v[10:11], s[24:25], -v[78:79]
	v_add_f64 v[48:49], v[50:51], v[48:49]
	v_fma_f64 v[50:51], v[10:11], s[24:25], v[78:79]
	v_add_f64 v[56:57], v[80:81], v[56:57]
	v_mul_f64 v[80:81], v[228:229], s[60:61]
	v_add_f64 v[48:49], v[50:51], v[48:49]
	v_fma_f64 v[82:83], v[14:15], s[16:17], v[80:81]
	v_fma_f64 v[50:51], v[14:15], s[16:17], -v[80:81]
	v_add_f64 v[84:85], v[82:83], v[46:47]
	v_mul_f64 v[46:47], v[226:227], s[60:61]
	v_fma_f64 v[82:83], v[0:1], s[16:17], -v[46:47]
	v_fma_f64 v[46:47], v[0:1], s[16:17], v[46:47]
	v_add_f64 v[82:83], v[82:83], v[56:57]
	buffer_store_dword v82, off, s[64:67], 0 offset:724 ; 4-byte Folded Spill
	s_nop 0
	buffer_store_dword v83, off, s[64:67], 0 offset:728 ; 4-byte Folded Spill
	buffer_store_dword v84, off, s[64:67], 0 offset:732 ; 4-byte Folded Spill
	;; [unrolled: 1-line block ×3, first 2 shown]
	v_mov_b32_e32 v84, v88
	v_mov_b32_e32 v85, v89
	;; [unrolled: 1-line block ×40, first 2 shown]
	v_add_f64 v[18:19], v[50:51], v[44:45]
	v_mul_f64 v[44:45], v[251:252], s[42:43]
	v_add_f64 v[16:17], v[46:47], v[48:49]
	v_mul_f64 v[48:49], v[214:215], s[56:57]
	buffer_store_dword v16, off, s[64:67], 0 offset:740 ; 4-byte Folded Spill
	s_nop 0
	buffer_store_dword v17, off, s[64:67], 0 offset:744 ; 4-byte Folded Spill
	buffer_store_dword v18, off, s[64:67], 0 offset:748 ; 4-byte Folded Spill
	;; [unrolled: 1-line block ×3, first 2 shown]
	v_fma_f64 v[46:47], v[235:236], s[34:35], v[44:45]
	v_fma_f64 v[50:51], v[243:244], s[8:9], v[48:49]
	v_fma_f64 v[44:45], v[235:236], s[34:35], -v[44:45]
	v_fma_f64 v[48:49], v[243:244], s[8:9], -v[48:49]
	v_add_f64 v[46:47], v[134:135], v[46:47]
	v_add_f64 v[44:45], v[134:135], v[44:45]
	;; [unrolled: 1-line block ×3, first 2 shown]
	v_mul_f64 v[50:51], v[208:209], s[20:21]
	v_add_f64 v[44:45], v[48:49], v[44:45]
	v_fma_f64 v[56:57], v[247:248], s[16:17], v[50:51]
	v_fma_f64 v[48:49], v[247:248], s[16:17], -v[50:51]
	v_fma_f64 v[50:51], v[239:240], s[8:9], v[68:69]
	v_mul_f64 v[68:69], v[241:242], s[48:49]
	v_add_f64 v[46:47], v[56:57], v[46:47]
	v_mul_f64 v[56:57], v[216:217], s[58:59]
	v_add_f64 v[44:45], v[48:49], v[44:45]
	v_fma_f64 v[58:59], v[204:205], s[26:27], v[56:57]
	v_fma_f64 v[48:49], v[204:205], s[26:27], -v[56:57]
	v_add_f64 v[46:47], v[58:59], v[46:47]
	v_mul_f64 v[58:59], v[8:9], s[40:41]
	v_add_f64 v[44:45], v[48:49], v[44:45]
	v_fma_f64 v[60:61], v[212:213], s[38:39], v[58:59]
	v_fma_f64 v[48:49], v[212:213], s[38:39], -v[58:59]
	;; [unrolled: 5-line block ×4, first 2 shown]
	v_add_f64 v[46:47], v[64:65], v[46:47]
	v_mul_f64 v[64:65], v[237:238], s[42:43]
	v_add_f64 v[44:45], v[48:49], v[44:45]
	v_fma_f64 v[66:67], v[233:234], s[34:35], -v[64:65]
	v_fma_f64 v[48:49], v[233:234], s[34:35], v[64:65]
	v_add_f64 v[66:67], v[132:133], v[66:67]
	v_add_f64 v[48:49], v[132:133], v[48:49]
	;; [unrolled: 1-line block ×3, first 2 shown]
	v_mul_f64 v[70:71], v[249:250], s[20:21]
	v_add_f64 v[48:49], v[50:51], v[48:49]
	v_fma_f64 v[72:73], v[245:246], s[16:17], -v[70:71]
	v_fma_f64 v[50:51], v[245:246], s[16:17], v[70:71]
	v_fma_f64 v[70:71], v[239:240], s[24:25], -v[68:69]
	v_add_f64 v[66:67], v[72:73], v[66:67]
	v_mul_f64 v[72:73], v[206:207], s[58:59]
	v_add_f64 v[48:49], v[50:51], v[48:49]
	v_fma_f64 v[74:75], v[253:254], s[26:27], -v[72:73]
	v_fma_f64 v[50:51], v[253:254], s[26:27], v[72:73]
	v_add_f64 v[66:67], v[74:75], v[66:67]
	v_mul_f64 v[74:75], v[218:219], s[40:41]
	v_add_f64 v[48:49], v[50:51], v[48:49]
	v_fma_f64 v[76:77], v[210:211], s[38:39], -v[74:75]
	v_fma_f64 v[50:51], v[210:211], s[38:39], v[74:75]
	;; [unrolled: 5-line block ×4, first 2 shown]
	v_add_f64 v[66:67], v[80:81], v[66:67]
	v_mul_f64 v[80:81], v[228:229], s[36:37]
	v_add_f64 v[48:49], v[50:51], v[48:49]
	v_fma_f64 v[82:83], v[14:15], s[24:25], v[80:81]
	v_fma_f64 v[50:51], v[14:15], s[24:25], -v[80:81]
	v_add_f64 v[18:19], v[82:83], v[46:47]
	v_mul_f64 v[46:47], v[226:227], s[36:37]
	v_fma_f64 v[82:83], v[0:1], s[24:25], -v[46:47]
	v_fma_f64 v[46:47], v[0:1], s[24:25], v[46:47]
	v_add_f64 v[16:17], v[82:83], v[66:67]
	buffer_store_dword v16, off, s[64:67], 0 offset:764 ; 4-byte Folded Spill
	s_nop 0
	buffer_store_dword v17, off, s[64:67], 0 offset:768 ; 4-byte Folded Spill
	buffer_store_dword v18, off, s[64:67], 0 offset:772 ; 4-byte Folded Spill
	;; [unrolled: 1-line block ×3, first 2 shown]
	v_add_f64 v[18:19], v[50:51], v[44:45]
	v_mul_f64 v[44:45], v[251:252], s[28:29]
	v_add_f64 v[16:17], v[46:47], v[48:49]
	v_mul_f64 v[48:49], v[214:215], s[48:49]
	buffer_store_dword v16, off, s[64:67], 0 offset:804 ; 4-byte Folded Spill
	s_nop 0
	buffer_store_dword v17, off, s[64:67], 0 offset:808 ; 4-byte Folded Spill
	buffer_store_dword v18, off, s[64:67], 0 offset:812 ; 4-byte Folded Spill
	;; [unrolled: 1-line block ×3, first 2 shown]
	v_fma_f64 v[46:47], v[235:236], s[26:27], v[44:45]
	v_fma_f64 v[50:51], v[243:244], s[24:25], v[48:49]
	v_fma_f64 v[44:45], v[235:236], s[26:27], -v[44:45]
	v_fma_f64 v[48:49], v[243:244], s[24:25], -v[48:49]
	v_add_f64 v[46:47], v[134:135], v[46:47]
	v_add_f64 v[44:45], v[134:135], v[44:45]
	;; [unrolled: 1-line block ×3, first 2 shown]
	v_mul_f64 v[50:51], v[208:209], s[40:41]
	v_add_f64 v[44:45], v[48:49], v[44:45]
	v_fma_f64 v[56:57], v[247:248], s[38:39], v[50:51]
	v_fma_f64 v[48:49], v[247:248], s[38:39], -v[50:51]
	v_fma_f64 v[50:51], v[239:240], s[24:25], v[68:69]
	v_add_f64 v[46:47], v[56:57], v[46:47]
	v_mul_f64 v[56:57], v[216:217], s[42:43]
	v_add_f64 v[44:45], v[48:49], v[44:45]
	v_fma_f64 v[58:59], v[204:205], s[34:35], v[56:57]
	v_fma_f64 v[48:49], v[204:205], s[34:35], -v[56:57]
	v_add_f64 v[46:47], v[58:59], v[46:47]
	v_mul_f64 v[58:59], v[8:9], s[60:61]
	v_add_f64 v[44:45], v[48:49], v[44:45]
	v_fma_f64 v[60:61], v[212:213], s[16:17], v[58:59]
	v_fma_f64 v[48:49], v[212:213], s[16:17], -v[58:59]
	;; [unrolled: 5-line block ×4, first 2 shown]
	v_add_f64 v[46:47], v[64:65], v[46:47]
	v_mul_f64 v[64:65], v[237:238], s[28:29]
	v_add_f64 v[44:45], v[48:49], v[44:45]
	v_fma_f64 v[66:67], v[233:234], s[26:27], -v[64:65]
	v_fma_f64 v[48:49], v[233:234], s[26:27], v[64:65]
	v_add_f64 v[66:67], v[132:133], v[66:67]
	v_add_f64 v[48:49], v[132:133], v[48:49]
	;; [unrolled: 1-line block ×3, first 2 shown]
	v_mul_f64 v[70:71], v[249:250], s[40:41]
	v_add_f64 v[48:49], v[50:51], v[48:49]
	v_fma_f64 v[72:73], v[245:246], s[38:39], -v[70:71]
	v_fma_f64 v[50:51], v[245:246], s[38:39], v[70:71]
	v_mul_f64 v[70:71], v[249:250], s[18:19]
	v_add_f64 v[66:67], v[72:73], v[66:67]
	v_mul_f64 v[72:73], v[206:207], s[42:43]
	v_add_f64 v[48:49], v[50:51], v[48:49]
	v_fma_f64 v[74:75], v[253:254], s[34:35], -v[72:73]
	v_fma_f64 v[50:51], v[253:254], s[34:35], v[72:73]
	v_add_f64 v[66:67], v[74:75], v[66:67]
	v_mul_f64 v[74:75], v[218:219], s[60:61]
	v_add_f64 v[48:49], v[50:51], v[48:49]
	v_fma_f64 v[76:77], v[210:211], s[16:17], -v[74:75]
	v_fma_f64 v[50:51], v[210:211], s[16:17], v[74:75]
	;; [unrolled: 5-line block ×3, first 2 shown]
	v_add_f64 v[66:67], v[78:79], v[66:67]
	v_mul_f64 v[78:79], v[2:3], s[30:31]
	v_add_f64 v[48:49], v[50:51], v[48:49]
	v_mul_f64 v[2:3], v[2:3], s[42:43]
	v_fma_f64 v[80:81], v[10:11], s[22:23], -v[78:79]
	v_fma_f64 v[50:51], v[10:11], s[22:23], v[78:79]
	v_add_f64 v[66:67], v[80:81], v[66:67]
	v_mul_f64 v[80:81], v[228:229], s[56:57]
	v_add_f64 v[48:49], v[50:51], v[48:49]
	v_fma_f64 v[82:83], v[14:15], s[8:9], v[80:81]
	v_fma_f64 v[50:51], v[14:15], s[8:9], -v[80:81]
	v_add_f64 v[18:19], v[82:83], v[46:47]
	v_mul_f64 v[46:47], v[226:227], s[56:57]
	v_add_f64 v[77:78], v[50:51], v[44:45]
	v_mul_f64 v[44:45], v[208:209], s[54:55]
	v_fma_f64 v[82:83], v[0:1], s[8:9], -v[46:47]
	v_fma_f64 v[46:47], v[0:1], s[8:9], v[46:47]
	v_add_f64 v[34:35], v[34:35], -v[44:45]
	v_mul_f64 v[44:45], v[251:252], s[36:37]
	v_add_f64 v[16:17], v[82:83], v[66:67]
	buffer_store_dword v16, off, s[64:67], 0 offset:844 ; 4-byte Folded Spill
	s_nop 0
	buffer_store_dword v17, off, s[64:67], 0 offset:848 ; 4-byte Folded Spill
	buffer_store_dword v18, off, s[64:67], 0 offset:852 ; 4-byte Folded Spill
	;; [unrolled: 1-line block ×3, first 2 shown]
	buffer_load_dword v16, off, s[64:67], 0 offset:900 ; 4-byte Folded Reload
	s_nop 0
	buffer_load_dword v17, off, s[64:67], 0 offset:904 ; 4-byte Folded Reload
	v_add_f64 v[24:25], v[24:25], -v[44:45]
	v_mul_f64 v[44:45], v[214:215], s[46:47]
	v_add_f64 v[75:76], v[46:47], v[48:49]
	v_add_f64 v[66:67], v[132:133], v[136:137]
	;; [unrolled: 1-line block ×3, first 2 shown]
	v_add_f64 v[30:31], v[30:31], -v[44:45]
	v_add_f64 v[24:25], v[30:31], v[24:25]
	v_mul_f64 v[30:31], v[216:217], s[18:19]
	v_add_f64 v[24:25], v[34:35], v[24:25]
	v_add_f64 v[30:31], v[32:33], -v[30:31]
	v_mul_f64 v[32:33], v[8:9], s[30:31]
	v_mul_f64 v[34:35], v[239:240], s[34:35]
	v_add_f64 v[24:25], v[30:31], v[24:25]
	v_add_f64 v[32:33], v[36:37], -v[32:33]
	v_mul_f64 v[30:31], v[12:13], s[60:61]
	v_add_f64 v[24:25], v[32:33], v[24:25]
	v_add_f64 v[30:31], v[38:39], -v[30:31]
	;; [unrolled: 3-line block ×3, first 2 shown]
	v_mul_f64 v[30:31], v[228:229], s[28:29]
	v_add_f64 v[24:25], v[32:33], v[24:25]
	v_mul_f64 v[32:33], v[245:246], s[2:3]
	v_add_f64 v[30:31], v[42:43], -v[30:31]
	v_add_f64 v[81:82], v[30:31], v[24:25]
	s_waitcnt vmcnt(0)
	v_add_f64 v[18:19], v[32:33], v[16:17]
	buffer_load_dword v16, off, s[64:67], 0 offset:532 ; 4-byte Folded Reload
	buffer_load_dword v17, off, s[64:67], 0 offset:536 ; 4-byte Folded Reload
	v_mul_f64 v[32:33], v[233:234], s[24:25]
	s_waitcnt vmcnt(0)
	v_add_f64 v[32:33], v[32:33], v[16:17]
	buffer_load_dword v16, off, s[64:67], 0 offset:684 ; 4-byte Folded Reload
	buffer_load_dword v17, off, s[64:67], 0 offset:688 ; 4-byte Folded Reload
	v_add_f64 v[32:33], v[132:133], v[32:33]
	s_waitcnt vmcnt(0)
	v_add_f64 v[34:35], v[34:35], v[16:17]
	v_add_f64 v[32:33], v[34:35], v[32:33]
	v_mul_f64 v[34:35], v[253:254], s[8:9]
	v_add_f64 v[18:19], v[18:19], v[32:33]
	v_add_f64 v[16:17], v[34:35], v[230:231]
	v_mul_f64 v[32:33], v[210:211], s[22:23]
	;; [unrolled: 3-line block ×6, first 2 shown]
	v_add_f64 v[79:80], v[18:19], v[16:17]
	buffer_load_dword v18, off, s[64:67], 0 offset:572 ; 4-byte Folded Reload
	buffer_load_dword v19, off, s[64:67], 0 offset:576 ; 4-byte Folded Reload
	;; [unrolled: 1-line block ×6, first 2 shown]
	v_mul_f64 v[16:17], v[208:209], s[48:49]
	s_waitcnt vmcnt(4)
	v_add_f64 v[16:17], v[18:19], -v[16:17]
	v_mul_f64 v[18:19], v[251:252], s[20:21]
	s_waitcnt vmcnt(2)
	v_add_f64 v[18:19], v[20:21], -v[18:19]
	v_mul_f64 v[20:21], v[214:215], s[30:31]
	v_add_f64 v[18:19], v[134:135], v[18:19]
	s_waitcnt vmcnt(0)
	v_add_f64 v[20:21], v[22:23], -v[20:21]
	buffer_load_dword v22, off, s[64:67], 0 offset:612 ; 4-byte Folded Reload
	buffer_load_dword v23, off, s[64:67], 0 offset:616 ; 4-byte Folded Reload
	v_add_f64 v[18:19], v[20:21], v[18:19]
	v_mul_f64 v[20:21], v[216:217], s[50:51]
	v_add_f64 v[16:17], v[16:17], v[18:19]
	v_mul_f64 v[18:19], v[8:9], s[18:19]
	s_waitcnt vmcnt(0)
	v_add_f64 v[20:21], v[22:23], -v[20:21]
	buffer_load_dword v22, off, s[64:67], 0 offset:628 ; 4-byte Folded Reload
	buffer_load_dword v23, off, s[64:67], 0 offset:632 ; 4-byte Folded Reload
	v_add_f64 v[16:17], v[20:21], v[16:17]
	v_mul_f64 v[20:21], v[12:13], s[42:43]
	s_waitcnt vmcnt(0)
	v_add_f64 v[18:19], v[22:23], -v[18:19]
	buffer_load_dword v22, off, s[64:67], 0 offset:652 ; 4-byte Folded Reload
	buffer_load_dword v23, off, s[64:67], 0 offset:656 ; 4-byte Folded Reload
	;; [unrolled: 6-line block ×5, first 2 shown]
	buffer_load_dword v24, off, s[64:67], 0 offset:412 ; 4-byte Folded Reload
	buffer_load_dword v25, off, s[64:67], 0 offset:416 ; 4-byte Folded Reload
	;; [unrolled: 1-line block ×4, first 2 shown]
	s_waitcnt vmcnt(4)
	v_add_f64 v[18:19], v[18:19], v[22:23]
	v_mul_f64 v[22:23], v[233:234], s[16:17]
	s_waitcnt vmcnt(2)
	v_add_f64 v[22:23], v[22:23], v[24:25]
	v_mul_f64 v[24:25], v[239:240], s[22:23]
	v_add_f64 v[22:23], v[132:133], v[22:23]
	s_waitcnt vmcnt(0)
	v_add_f64 v[24:25], v[24:25], v[26:27]
	buffer_load_dword v26, off, s[64:67], 0 offset:596 ; 4-byte Folded Reload
	buffer_load_dword v27, off, s[64:67], 0 offset:600 ; 4-byte Folded Reload
	v_add_f64 v[22:23], v[24:25], v[22:23]
	v_mul_f64 v[24:25], v[253:254], s[38:39]
	v_add_f64 v[18:19], v[18:19], v[22:23]
	v_mul_f64 v[22:23], v[210:211], s[8:9]
	s_waitcnt vmcnt(0)
	v_add_f64 v[24:25], v[24:25], v[26:27]
	buffer_load_dword v26, off, s[64:67], 0 offset:604 ; 4-byte Folded Reload
	buffer_load_dword v27, off, s[64:67], 0 offset:608 ; 4-byte Folded Reload
	v_add_f64 v[18:19], v[24:25], v[18:19]
	v_mul_f64 v[24:25], v[4:5], s[34:35]
	s_waitcnt vmcnt(0)
	v_add_f64 v[22:23], v[22:23], v[26:27]
	buffer_load_dword v26, off, s[64:67], 0 offset:636 ; 4-byte Folded Reload
	buffer_load_dword v27, off, s[64:67], 0 offset:640 ; 4-byte Folded Reload
	;; [unrolled: 6-line block ×5, first 2 shown]
	s_waitcnt vmcnt(0)
	v_add_f64 v[26:27], v[26:27], -v[18:19]
	v_add_f64 v[18:19], v[20:21], v[16:17]
	v_add_f64 v[16:17], v[24:25], v[22:23]
	buffer_load_dword v24, off, s[64:67], 0 offset:420 ; 4-byte Folded Reload
	buffer_load_dword v25, off, s[64:67], 0 offset:424 ; 4-byte Folded Reload
	;; [unrolled: 1-line block ×28, first 2 shown]
	v_mul_f64 v[20:21], v[233:234], s[8:9]
	v_mul_f64 v[22:23], v[208:209], s[52:53]
	v_add_f64 v[26:27], v[134:135], v[26:27]
	buffer_load_dword v60, off, s[64:67], 0 offset:884 ; 4-byte Folded Reload
	buffer_load_dword v61, off, s[64:67], 0 offset:888 ; 4-byte Folded Reload
	;; [unrolled: 1-line block ×6, first 2 shown]
	s_waitcnt vmcnt(32)
	v_add_f64 v[24:25], v[24:25], -v[28:29]
	v_mul_f64 v[28:29], v[216:217], s[48:49]
	s_waitcnt vmcnt(30)
	v_add_f64 v[20:21], v[20:21], v[30:31]
	v_mul_f64 v[30:31], v[239:240], s[26:27]
	s_waitcnt vmcnt(28)
	v_add_f64 v[22:23], v[32:33], -v[22:23]
	v_mul_f64 v[32:33], v[8:9], s[54:55]
	v_add_f64 v[24:25], v[24:25], v[26:27]
	s_waitcnt vmcnt(26)
	v_add_f64 v[28:29], v[34:35], -v[28:29]
	v_mul_f64 v[34:35], v[245:246], s[22:23]
	s_waitcnt vmcnt(24)
	v_add_f64 v[30:31], v[30:31], v[36:37]
	v_add_f64 v[20:21], v[132:133], v[20:21]
	s_waitcnt vmcnt(22)
	v_add_f64 v[32:33], v[38:39], -v[32:33]
	v_mul_f64 v[38:39], v[253:254], s[24:25]
	v_mul_f64 v[36:37], v[251:252], s[10:11]
	v_add_f64 v[22:23], v[22:23], v[24:25]
	v_mul_f64 v[24:25], v[12:13], s[40:41]
	s_waitcnt vmcnt(20)
	v_add_f64 v[34:35], v[34:35], v[40:41]
	v_mul_f64 v[26:27], v[233:234], s[2:3]
	v_add_f64 v[20:21], v[30:31], v[20:21]
	v_mul_f64 v[30:31], v[214:215], s[20:21]
	s_waitcnt vmcnt(16)
	v_add_f64 v[38:39], v[38:39], v[44:45]
	s_waitcnt vmcnt(4)
	v_add_f64 v[36:37], v[60:61], -v[36:37]
	v_add_f64 v[22:23], v[28:29], v[22:23]
	v_mul_f64 v[28:29], v[224:225], s[20:21]
	v_add_f64 v[24:25], v[42:43], -v[24:25]
	v_mul_f64 v[42:43], v[210:211], s[2:3]
	v_add_f64 v[20:21], v[34:35], v[20:21]
	s_waitcnt vmcnt(0)
	v_add_f64 v[30:31], v[64:65], -v[30:31]
	v_mul_f64 v[40:41], v[239:240], s[16:17]
	v_add_f64 v[36:37], v[134:135], v[36:37]
	v_add_f64 v[22:23], v[32:33], v[22:23]
	v_add_f64 v[28:29], v[46:47], -v[28:29]
	v_mul_f64 v[46:47], v[4:5], s[38:39]
	v_add_f64 v[42:43], v[42:43], v[48:49]
	v_add_f64 v[20:21], v[38:39], v[20:21]
	v_mul_f64 v[32:33], v[228:229], s[42:43]
	v_mul_f64 v[34:35], v[208:209], s[28:29]
	v_add_f64 v[30:31], v[30:31], v[36:37]
	v_add_f64 v[22:23], v[24:25], v[22:23]
	v_mul_f64 v[24:25], v[10:11], s[16:17]
	v_add_f64 v[46:47], v[46:47], v[56:57]
	v_mul_f64 v[56:57], v[8:9], s[46:47]
	v_add_f64 v[20:21], v[42:43], v[20:21]
	v_add_f64 v[32:33], v[50:51], -v[32:33]
	v_mul_f64 v[38:39], v[216:217], s[30:31]
	v_mul_f64 v[42:43], v[0:1], s[34:35]
	v_add_f64 v[22:23], v[28:29], v[22:23]
	v_add_f64 v[24:25], v[24:25], v[58:59]
	v_mul_f64 v[58:59], v[12:13], s[48:49]
	v_mul_f64 v[44:45], v[245:246], s[26:27]
	v_add_f64 v[20:21], v[46:47], v[20:21]
	v_mul_f64 v[46:47], v[228:229], s[50:51]
	v_mul_f64 v[48:49], v[253:254], s[22:23]
	v_add_f64 v[42:43], v[42:43], v[62:63]
	v_add_f64 v[22:23], v[32:33], v[22:23]
	v_mul_f64 v[62:63], v[224:225], s[56:57]
	v_mul_f64 v[50:51], v[210:211], s[34:35]
	;; [unrolled: 1-line block ×3, first 2 shown]
	v_add_f64 v[20:21], v[24:25], v[20:21]
	buffer_load_dword v24, off, s[64:67], 0 offset:564 ; 4-byte Folded Reload
	buffer_load_dword v25, off, s[64:67], 0 offset:568 ; 4-byte Folded Reload
	buffer_load_dword v32, off, s[64:67], 0 offset:836 ; 4-byte Folded Reload
	buffer_load_dword v33, off, s[64:67], 0 offset:840 ; 4-byte Folded Reload
	v_mul_f64 v[64:65], v[0:1], s[38:39]
	v_mul_f64 v[60:61], v[10:11], s[8:9]
	;; [unrolled: 1-line block ×3, first 2 shown]
	v_add_f64 v[20:21], v[42:43], v[20:21]
	s_waitcnt vmcnt(2)
	v_add_f64 v[24:25], v[24:25], -v[46:47]
	s_waitcnt vmcnt(0)
	v_add_f64 v[26:27], v[26:27], v[32:33]
	buffer_load_dword v32, off, s[64:67], 0 offset:492 ; 4-byte Folded Reload
	buffer_load_dword v33, off, s[64:67], 0 offset:496 ; 4-byte Folded Reload
	;; [unrolled: 1-line block ×6, first 2 shown]
	v_add_f64 v[26:27], v[132:133], v[26:27]
	s_waitcnt vmcnt(4)
	v_add_f64 v[32:33], v[32:33], -v[62:63]
	s_waitcnt vmcnt(2)
	v_add_f64 v[34:35], v[46:47], -v[34:35]
	;; [unrolled: 2-line block ×3, first 2 shown]
	buffer_load_dword v58, off, s[64:67], 0 offset:396 ; 4-byte Folded Reload
	buffer_load_dword v59, off, s[64:67], 0 offset:400 ; 4-byte Folded Reload
	v_mul_f64 v[46:47], v[251:252], s[40:41]
	v_add_f64 v[30:31], v[34:35], v[30:31]
	v_fma_f64 v[62:63], v[235:236], s[38:39], v[46:47]
	v_fma_f64 v[46:47], v[235:236], s[38:39], -v[46:47]
	v_add_f64 v[62:63], v[134:135], v[62:63]
	v_add_f64 v[46:47], v[134:135], v[46:47]
	s_waitcnt vmcnt(0)
	v_add_f64 v[56:57], v[58:59], -v[56:57]
	buffer_load_dword v58, off, s[64:67], 0 offset:820 ; 4-byte Folded Reload
	buffer_load_dword v59, off, s[64:67], 0 offset:824 ; 4-byte Folded Reload
	s_waitcnt vmcnt(0)
	v_add_f64 v[40:41], v[40:41], v[58:59]
	buffer_load_dword v58, off, s[64:67], 0 offset:860 ; 4-byte Folded Reload
	buffer_load_dword v59, off, s[64:67], 0 offset:864 ; 4-byte Folded Reload
	;; [unrolled: 1-line block ×4, first 2 shown]
	v_add_f64 v[26:27], v[40:41], v[26:27]
	v_mul_f64 v[40:41], v[208:209], s[18:19]
	s_waitcnt vmcnt(2)
	v_add_f64 v[38:39], v[58:59], -v[38:39]
	v_mul_f64 v[58:59], v[214:215], s[10:11]
	s_waitcnt vmcnt(0)
	v_add_f64 v[34:35], v[44:45], v[34:35]
	v_add_f64 v[44:45], v[134:135], v[138:139]
	;; [unrolled: 1-line block ×3, first 2 shown]
	buffer_load_dword v38, off, s[64:67], 0 offset:756 ; 4-byte Folded Reload
	buffer_load_dword v39, off, s[64:67], 0 offset:760 ; 4-byte Folded Reload
	v_fma_f64 v[68:69], v[243:244], s[2:3], v[58:59]
	v_add_f64 v[44:45], v[142:143], v[44:45]
	v_add_f64 v[26:27], v[34:35], v[26:27]
	v_mul_f64 v[34:35], v[216:217], s[20:21]
	v_fma_f64 v[58:59], v[243:244], s[2:3], -v[58:59]
	v_add_f64 v[30:31], v[56:57], v[30:31]
	buffer_load_dword v56, off, s[64:67], 0 offset:780 ; 4-byte Folded Reload
	buffer_load_dword v57, off, s[64:67], 0 offset:784 ; 4-byte Folded Reload
	v_add_f64 v[62:63], v[68:69], v[62:63]
	v_add_f64 v[44:45], v[146:147], v[44:45]
	v_add_f64 v[46:47], v[58:59], v[46:47]
	v_fma_f64 v[58:59], v[245:246], s[8:9], v[70:71]
	v_add_f64 v[30:31], v[36:37], v[30:31]
	buffer_load_dword v36, off, s[64:67], 0 offset:788 ; 4-byte Folded Reload
	buffer_load_dword v37, off, s[64:67], 0 offset:792 ; 4-byte Folded Reload
	v_fma_f64 v[70:71], v[245:246], s[8:9], -v[70:71]
	v_add_f64 v[30:31], v[32:33], v[30:31]
	buffer_load_dword v32, off, s[64:67], 0 offset:796 ; 4-byte Folded Reload
	buffer_load_dword v33, off, s[64:67], 0 offset:800 ; 4-byte Folded Reload
	s_waitcnt vmcnt(6)
	v_add_f64 v[38:39], v[48:49], v[38:39]
	v_add_f64 v[48:49], v[140:141], v[66:67]
	v_fma_f64 v[66:67], v[247:248], s[8:9], v[40:41]
	v_fma_f64 v[40:41], v[247:248], s[8:9], -v[40:41]
	s_waitcnt vmcnt(4)
	v_add_f64 v[50:51], v[50:51], v[56:57]
	v_add_f64 v[48:49], v[144:145], v[48:49]
	;; [unrolled: 1-line block ×3, first 2 shown]
	v_mul_f64 v[38:39], v[8:9], s[36:37]
	v_fma_f64 v[8:9], v[204:205], s[16:17], v[34:35]
	v_add_f64 v[56:57], v[66:67], v[62:63]
	v_mul_f64 v[66:67], v[241:242], s[10:11]
	v_fma_f64 v[34:35], v[204:205], s[16:17], -v[34:35]
	s_waitcnt vmcnt(2)
	v_add_f64 v[28:29], v[28:29], v[36:37]
	v_add_f64 v[36:37], v[150:151], v[44:45]
	v_add_f64 v[44:45], v[148:149], v[48:49]
	v_fma_f64 v[48:49], v[212:213], s[24:25], v[38:39]
	v_add_f64 v[40:41], v[40:41], v[46:47]
	v_add_f64 v[8:9], v[8:9], v[56:57]
	v_mul_f64 v[56:57], v[237:238], s[40:41]
	v_fma_f64 v[72:73], v[239:240], s[2:3], v[66:67]
	v_fma_f64 v[66:67], v[239:240], s[2:3], -v[66:67]
	v_mul_f64 v[62:63], v[218:219], s[36:37]
	v_add_f64 v[26:27], v[50:51], v[26:27]
	v_fma_f64 v[38:39], v[212:213], s[24:25], -v[38:39]
	v_add_f64 v[34:35], v[34:35], v[40:41]
	v_add_f64 v[48:49], v[48:49], v[8:9]
	;; [unrolled: 1-line block ×3, first 2 shown]
	buffer_load_dword v24, off, s[64:67], 0 offset:404 ; 4-byte Folded Reload
	buffer_load_dword v25, off, s[64:67], 0 offset:408 ; 4-byte Folded Reload
	v_fma_f64 v[68:69], v[233:234], s[38:39], v[56:57]
	v_fma_f64 v[56:57], v[233:234], s[38:39], -v[56:57]
	s_waitcnt vmcnt(2)
	v_add_f64 v[32:33], v[60:61], v[32:33]
	v_mul_f64 v[60:61], v[220:221], s[28:29]
	v_fma_f64 v[40:41], v[210:211], s[24:25], v[62:63]
	v_add_f64 v[36:37], v[154:155], v[36:37]
	v_add_f64 v[44:45], v[152:153], v[44:45]
	;; [unrolled: 1-line block ×5, first 2 shown]
	v_mul_f64 v[28:29], v[224:225], s[42:43]
	v_fma_f64 v[50:51], v[6:7], s[26:27], v[12:13]
	v_fma_f64 v[6:7], v[6:7], s[26:27], -v[12:13]
	v_add_f64 v[12:13], v[38:39], v[34:35]
	v_fma_f64 v[34:35], v[4:5], s[26:27], v[60:61]
	v_fma_f64 v[4:5], v[4:5], s[26:27], -v[60:61]
	v_add_f64 v[68:69], v[72:73], v[68:69]
	v_add_f64 v[56:57], v[66:67], v[56:57]
	v_add_f64 v[30:31], v[162:163], v[36:37]
	v_add_f64 v[36:37], v[160:161], v[44:45]
	v_add_f64 v[26:27], v[32:33], v[26:27]
	v_mul_f64 v[32:33], v[228:229], s[30:31]
	v_fma_f64 v[44:45], v[222:223], s[34:35], v[28:29]
	v_fma_f64 v[28:29], v[222:223], s[34:35], -v[28:29]
	v_add_f64 v[58:59], v[58:59], v[68:69]
	v_add_f64 v[56:57], v[70:71], v[56:57]
	;; [unrolled: 1-line block ×4, first 2 shown]
	v_mul_f64 v[50:51], v[226:227], s[30:31]
	v_fma_f64 v[12:13], v[10:11], s[34:35], v[2:3]
	v_fma_f64 v[2:3], v[10:11], s[34:35], -v[2:3]
	v_fma_f64 v[10:11], v[14:15], s[22:23], -v[32:33]
	buffer_load_dword v69, off, s[64:67], 0 offset:700 ; 4-byte Folded Reload
	buffer_load_dword v68, off, s[64:67], 0 offset:696 ; 4-byte Folded Reload
	;; [unrolled: 1-line block ×7, first 2 shown]
	v_add_f64 v[6:7], v[28:29], v[6:7]
	v_add_f64 v[30:31], v[158:159], v[30:31]
	v_fma_f64 v[28:29], v[0:1], s[22:23], v[50:51]
	v_add_f64 v[36:37], v[156:157], v[36:37]
	v_fma_f64 v[14:15], v[14:15], s[22:23], v[32:33]
	v_add_f64 v[32:33], v[44:45], v[48:49]
	v_add_f64 v[30:31], v[166:167], v[30:31]
	;; [unrolled: 1-line block ×11, first 2 shown]
	s_waitcnt vmcnt(7)
	v_add_f64 v[24:25], v[64:65], v[24:25]
	v_mul_f64 v[64:65], v[206:207], s[20:21]
	v_add_f64 v[30:31], v[186:187], v[30:31]
	v_add_f64 v[36:37], v[184:185], v[36:37]
	v_fma_f64 v[46:47], v[253:254], s[16:17], v[64:65]
	v_fma_f64 v[64:65], v[253:254], s[16:17], -v[64:65]
	v_add_f64 v[30:31], v[126:127], v[30:31]
	v_add_f64 v[36:37], v[124:125], v[36:37]
	;; [unrolled: 1-line block ×3, first 2 shown]
	v_fma_f64 v[58:59], v[210:211], s[24:25], -v[62:63]
	v_add_f64 v[56:57], v[64:65], v[56:57]
	v_add_f64 v[30:31], v[130:131], v[30:31]
	;; [unrolled: 1-line block ×6, first 2 shown]
	v_fma_f64 v[38:39], v[0:1], s[22:23], -v[50:51]
	v_add_f64 v[4:5], v[4:5], v[40:41]
	buffer_load_dword v51, off, s[64:67], 0 offset:692 ; 4-byte Folded Reload
	v_add_f64 v[34:35], v[12:13], v[34:35]
	v_add_f64 v[4:5], v[2:3], v[4:5]
	;; [unrolled: 1-line block ×3, first 2 shown]
	buffer_load_dword v10, off, s[64:67], 0 offset:20 ; 4-byte Folded Reload
	buffer_load_dword v11, off, s[64:67], 0 offset:24 ; 4-byte Folded Reload
	;; [unrolled: 1-line block ×4, first 2 shown]
	v_add_f64 v[6:7], v[24:25], v[26:27]
	v_add_f64 v[26:27], v[14:15], v[32:33]
	;; [unrolled: 1-line block ×4, first 2 shown]
	buffer_load_dword v4, off, s[64:67], 0  ; 4-byte Folded Reload
	buffer_load_dword v5, off, s[64:67], 0 offset:8 ; 4-byte Folded Reload
	s_waitcnt vmcnt(2)
	v_add_f64 v[12:13], v[12:13], v[30:31]
	v_add_f64 v[10:11], v[10:11], v[36:37]
	s_waitcnt vmcnt(1)
	v_mul_lo_u16_e32 v4, 17, v4
	s_waitcnt vmcnt(0)
	v_lshl_add_u32 v4, v4, 4, v5
	ds_write_b128 v4, v[10:13]
	ds_write_b128 v4, v[0:3] offset:16
	ds_write_b128 v4, v[6:9] offset:32
	;; [unrolled: 1-line block ×6, first 2 shown]
	buffer_load_dword v0, off, s[64:67], 0 offset:804 ; 4-byte Folded Reload
	buffer_load_dword v1, off, s[64:67], 0 offset:808 ; 4-byte Folded Reload
	buffer_load_dword v2, off, s[64:67], 0 offset:812 ; 4-byte Folded Reload
	buffer_load_dword v3, off, s[64:67], 0 offset:816 ; 4-byte Folded Reload
	s_waitcnt vmcnt(0)
	ds_write_b128 v4, v[0:3] offset:112
	buffer_load_dword v0, off, s[64:67], 0 offset:740 ; 4-byte Folded Reload
	buffer_load_dword v1, off, s[64:67], 0 offset:744 ; 4-byte Folded Reload
	buffer_load_dword v2, off, s[64:67], 0 offset:748 ; 4-byte Folded Reload
	buffer_load_dword v3, off, s[64:67], 0 offset:752 ; 4-byte Folded Reload
	s_waitcnt vmcnt(0)
	ds_write_b128 v4, v[0:3] offset:128
	;; [unrolled: 6-line block ×5, first 2 shown]
	ds_write_b128 v4, v[200:203] offset:192
	ds_write_b128 v4, v[192:195] offset:208
	;; [unrolled: 1-line block ×5, first 2 shown]
.LBB0_17:
	s_or_b64 exec, exec, s[44:45]
	s_waitcnt vmcnt(0) lgkmcnt(0)
	s_barrier
	ds_read_b128 v[140:143], v255
	ds_read_b128 v[0:3], v255 offset:1088
	ds_read_b128 v[152:155], v255 offset:7616
	;; [unrolled: 1-line block ×11, first 2 shown]
	s_and_saveexec_b64 s[2:3], s[0:1]
	s_cbranch_execz .LBB0_19
; %bb.18:
	ds_read_b128 v[200:203], v255 offset:3264
	ds_read_b128 v[192:195], v255 offset:7072
	;; [unrolled: 1-line block ×4, first 2 shown]
.LBB0_19:
	s_or_b64 exec, exec, s[2:3]
	buffer_load_dword v31, off, s[64:67], 0 offset:172 ; 4-byte Folded Reload
	buffer_load_dword v32, off, s[64:67], 0 offset:176 ; 4-byte Folded Reload
	;; [unrolled: 1-line block ×12, first 2 shown]
	v_add_u32_e32 v4, 0x440, v232
	s_waitcnt vmcnt(8) lgkmcnt(7)
	v_mul_f64 v[5:6], v[33:34], v[162:163]
	s_waitcnt vmcnt(4)
	v_mul_f64 v[9:10], v[23:24], v[154:155]
	v_mul_f64 v[11:12], v[23:24], v[152:153]
	buffer_load_dword v23, off, s[64:67], 0 offset:140 ; 4-byte Folded Reload
	buffer_load_dword v24, off, s[64:67], 0 offset:144 ; 4-byte Folded Reload
	;; [unrolled: 1-line block ×8, first 2 shown]
	v_mul_f64 v[7:8], v[33:34], v[160:161]
	s_waitcnt vmcnt(8) lgkmcnt(3)
	v_mul_f64 v[13:14], v[29:30], v[166:167]
	v_mul_f64 v[15:16], v[29:30], v[164:165]
	v_fma_f64 v[5:6], v[31:32], v[160:161], v[5:6]
	v_fma_f64 v[9:10], v[21:22], v[152:153], v[9:10]
	v_fma_f64 v[11:12], v[21:22], v[154:155], -v[11:12]
	v_fma_f64 v[7:8], v[31:32], v[162:163], -v[7:8]
	v_fma_f64 v[13:14], v[27:28], v[164:165], v[13:14]
	v_fma_f64 v[15:16], v[27:28], v[166:167], -v[15:16]
	v_add_f64 v[29:30], v[140:141], -v[9:10]
	v_add_f64 v[31:32], v[142:143], -v[11:12]
	;; [unrolled: 1-line block ×4, first 2 shown]
	v_fma_f64 v[9:10], v[140:141], 2.0, -v[29:30]
	v_fma_f64 v[11:12], v[142:143], 2.0, -v[31:32]
	;; [unrolled: 1-line block ×4, first 2 shown]
	v_add_f64 v[13:14], v[29:30], v[13:14]
	v_add_f64 v[5:6], v[9:10], -v[5:6]
	v_add_f64 v[7:8], v[11:12], -v[7:8]
	v_fma_f64 v[9:10], v[9:10], 2.0, -v[5:6]
	v_fma_f64 v[11:12], v[11:12], 2.0, -v[7:8]
	s_waitcnt vmcnt(4)
	v_mul_f64 v[17:18], v[25:26], v[158:159]
	v_mul_f64 v[19:20], v[25:26], v[156:157]
	s_waitcnt vmcnt(0)
	v_mul_f64 v[21:22], v[37:38], v[146:147]
	v_fma_f64 v[17:18], v[23:24], v[156:157], v[17:18]
	v_fma_f64 v[19:20], v[23:24], v[158:159], -v[19:20]
	v_mul_f64 v[23:24], v[37:38], v[144:145]
	buffer_load_dword v37, off, s[64:67], 0 offset:108 ; 4-byte Folded Reload
	buffer_load_dword v38, off, s[64:67], 0 offset:112 ; 4-byte Folded Reload
	;; [unrolled: 1-line block ×16, first 2 shown]
	v_fma_f64 v[21:22], v[35:36], v[144:145], v[21:22]
	s_waitcnt vmcnt(0) lgkmcnt(0)
	s_barrier
	v_fma_f64 v[23:24], v[35:36], v[146:147], -v[23:24]
	v_mul_f64 v[25:26], v[39:40], v[150:151]
	v_mul_f64 v[27:28], v[39:40], v[148:149]
	;; [unrolled: 1-line block ×7, first 2 shown]
	v_add_f64 v[49:50], v[2:3], -v[23:24]
	v_fma_f64 v[25:26], v[37:38], v[148:149], v[25:26]
	v_fma_f64 v[27:28], v[37:38], v[150:151], -v[27:28]
	v_mul_f64 v[37:38], v[58:59], v[134:135]
	v_fma_f64 v[45:46], v[60:61], v[128:129], v[15:16]
	v_fma_f64 v[35:36], v[60:61], v[130:131], -v[35:36]
	v_fma_f64 v[39:40], v[56:57], v[134:135], -v[39:40]
	v_fma_f64 v[41:42], v[47:48], v[136:137], v[41:42]
	v_fma_f64 v[43:44], v[47:48], v[138:139], -v[43:44]
	v_add_f64 v[47:48], v[0:1], -v[21:22]
	v_add_f64 v[23:24], v[17:18], -v[25:26]
	v_fma_f64 v[37:38], v[56:57], v[132:133], v[37:38]
	v_add_f64 v[21:22], v[19:20], -v[27:28]
	v_add_f64 v[15:16], v[31:32], -v[33:34]
	;; [unrolled: 1-line block ×4, first 2 shown]
	v_fma_f64 v[41:42], v[2:3], 2.0, -v[49:50]
	v_fma_f64 v[39:40], v[0:1], 2.0, -v[47:48]
	;; [unrolled: 1-line block ×3, first 2 shown]
	v_add_f64 v[56:57], v[124:125], -v[37:38]
	v_add_f64 v[37:38], v[35:36], -v[43:44]
	v_fma_f64 v[19:20], v[19:20], 2.0, -v[21:22]
	v_fma_f64 v[60:61], v[126:127], 2.0, -v[58:59]
	;; [unrolled: 1-line block ×3, first 2 shown]
	v_add_f64 v[21:22], v[47:48], v[21:22]
	v_add_f64 v[23:24], v[49:50], -v[23:24]
	v_add_f64 v[17:18], v[39:40], -v[17:18]
	v_fma_f64 v[43:44], v[124:125], 2.0, -v[56:57]
	v_fma_f64 v[27:28], v[35:36], 2.0, -v[37:38]
	v_add_f64 v[19:20], v[41:42], -v[19:20]
	v_fma_f64 v[0:1], v[29:30], 2.0, -v[13:14]
	v_fma_f64 v[2:3], v[31:32], 2.0, -v[15:16]
	v_add_f64 v[29:30], v[56:57], v[37:38]
	v_add_f64 v[31:32], v[58:59], -v[33:34]
	v_fma_f64 v[33:34], v[39:40], 2.0, -v[17:18]
	v_add_f64 v[25:26], v[43:44], -v[25:26]
	v_add_f64 v[27:28], v[60:61], -v[27:28]
	v_fma_f64 v[35:36], v[41:42], 2.0, -v[19:20]
	v_fma_f64 v[37:38], v[47:48], 2.0, -v[21:22]
	v_fma_f64 v[39:40], v[49:50], 2.0, -v[23:24]
	v_fma_f64 v[45:46], v[56:57], 2.0, -v[29:30]
	v_fma_f64 v[47:48], v[58:59], 2.0, -v[31:32]
	v_fma_f64 v[41:42], v[43:44], 2.0, -v[25:26]
	v_fma_f64 v[43:44], v[60:61], 2.0, -v[27:28]
	ds_write_b128 v68, v[9:12]
	ds_write_b128 v68, v[0:3] offset:272
	ds_write_b128 v68, v[5:8] offset:544
	ds_write_b128 v68, v[13:16] offset:816
	ds_write_b128 v69, v[33:36]
	ds_write_b128 v69, v[37:40] offset:272
	ds_write_b128 v69, v[17:20] offset:544
	ds_write_b128 v69, v[21:24] offset:816
	;; [unrolled: 4-line block ×3, first 2 shown]
	s_mov_b64 s[2:3], exec
	buffer_load_dword v79, off, s[64:67], 0 ; 4-byte Folded Reload
	s_and_b64 s[0:1], s[2:3], s[0:1]
	s_mov_b64 exec, s[0:1]
	s_cbranch_execz .LBB0_21
; %bb.20:
	buffer_load_dword v17, off, s[64:67], 0 offset:348 ; 4-byte Folded Reload
	buffer_load_dword v18, off, s[64:67], 0 offset:352 ; 4-byte Folded Reload
	;; [unrolled: 1-line block ×12, first 2 shown]
	s_movk_i32 s0, 0x44
	s_waitcnt vmcnt(8)
	v_mul_f64 v[0:1], v[19:20], v[188:189]
	s_waitcnt vmcnt(4)
	v_mul_f64 v[2:3], v[23:24], v[194:195]
	v_mul_f64 v[5:6], v[23:24], v[192:193]
	s_waitcnt vmcnt(0)
	v_mul_f64 v[7:8], v[15:16], v[196:197]
	v_mul_f64 v[9:10], v[19:20], v[190:191]
	;; [unrolled: 1-line block ×3, first 2 shown]
	v_fma_f64 v[0:1], v[17:18], v[190:191], -v[0:1]
	v_fma_f64 v[2:3], v[21:22], v[192:193], v[2:3]
	v_fma_f64 v[5:6], v[21:22], v[194:195], -v[5:6]
	v_fma_f64 v[7:8], v[13:14], v[198:199], -v[7:8]
	v_fma_f64 v[9:10], v[17:18], v[188:189], v[9:10]
	v_fma_f64 v[11:12], v[13:14], v[196:197], v[11:12]
	v_add_f64 v[13:14], v[202:203], -v[0:1]
	v_add_f64 v[0:1], v[5:6], -v[7:8]
	;; [unrolled: 1-line block ×4, first 2 shown]
	v_fma_f64 v[15:16], v[202:203], 2.0, -v[13:14]
	v_fma_f64 v[5:6], v[5:6], 2.0, -v[0:1]
	;; [unrolled: 1-line block ×4, first 2 shown]
	v_add_f64 v[2:3], v[13:14], -v[7:8]
	v_add_f64 v[0:1], v[9:10], v[0:1]
	v_add_f64 v[7:8], v[15:16], -v[5:6]
	v_add_f64 v[5:6], v[17:18], -v[11:12]
	v_fma_f64 v[11:12], v[13:14], 2.0, -v[2:3]
	v_fma_f64 v[9:10], v[9:10], 2.0, -v[0:1]
	;; [unrolled: 1-line block ×4, first 2 shown]
	buffer_load_dword v17, off, s[64:67], 0 offset:36 ; 4-byte Folded Reload
	buffer_load_dword v18, off, s[64:67], 0 offset:8 ; 4-byte Folded Reload
	s_waitcnt vmcnt(1)
	v_mad_legacy_u16 v17, v51, s0, v17
	s_waitcnt vmcnt(0)
	v_lshl_add_u32 v17, v17, 4, v18
	ds_write_b128 v17, v[9:12] offset:272
	ds_write_b128 v17, v[5:8] offset:544
	ds_write_b128 v17, v[13:16]
	ds_write_b128 v17, v[0:3] offset:816
.LBB0_21:
	s_or_b64 exec, exec, s[2:3]
	s_waitcnt vmcnt(0) lgkmcnt(0)
	s_barrier
	ds_read_b128 v[0:3], v255 offset:7616
	ds_read_b128 v[5:8], v255
	ds_read_b128 v[9:12], v255 offset:1088
	ds_read_b128 v[13:16], v255 offset:8704
	;; [unrolled: 1-line block ×8, first 2 shown]
	s_waitcnt lgkmcnt(9)
	v_mul_f64 v[49:50], v[54:55], v[2:3]
	v_mul_f64 v[56:57], v[54:55], v[0:1]
	ds_read_b128 v[41:44], v255 offset:4352
	ds_read_b128 v[45:48], v255 offset:5440
	;; [unrolled: 1-line block ×4, first 2 shown]
	buffer_load_dword v80, off, s[64:67], 0 offset:228 ; 4-byte Folded Reload
	buffer_load_dword v81, off, s[64:67], 0 offset:232 ; 4-byte Folded Reload
	buffer_load_dword v82, off, s[64:67], 0 offset:236 ; 4-byte Folded Reload
	buffer_load_dword v83, off, s[64:67], 0 offset:240 ; 4-byte Folded Reload
	s_waitcnt lgkmcnt(10)
	v_mul_f64 v[58:59], v[54:55], v[15:16]
	v_mul_f64 v[54:55], v[54:55], v[13:14]
	buffer_load_dword v132, off, s[64:67], 0 offset:244 ; 4-byte Folded Reload
	buffer_load_dword v133, off, s[64:67], 0 offset:248 ; 4-byte Folded Reload
	;; [unrolled: 1-line block ×8, first 2 shown]
	v_fma_f64 v[0:1], v[52:53], v[0:1], v[49:50]
	v_fma_f64 v[2:3], v[52:53], v[2:3], -v[56:57]
	buffer_load_dword v65, off, s[64:67], 0 offset:188 ; 4-byte Folded Reload
	buffer_load_dword v66, off, s[64:67], 0 offset:192 ; 4-byte Folded Reload
	;; [unrolled: 1-line block ×4, first 2 shown]
	s_waitcnt lgkmcnt(0)
	v_fma_f64 v[13:14], v[52:53], v[13:14], v[58:59]
	v_fma_f64 v[15:16], v[52:53], v[15:16], -v[54:55]
	s_waitcnt vmcnt(0)
	s_barrier
	v_add_f64 v[0:1], v[5:6], -v[0:1]
	v_add_f64 v[2:3], v[7:8], -v[2:3]
	s_mov_b32 s2, 0x37e14327
	s_mov_b32 s0, 0x36b3c0b5
	v_add_f64 v[13:14], v[9:10], -v[13:14]
	v_add_f64 v[15:16], v[11:12], -v[15:16]
	s_mov_b32 s10, 0xe976ee23
	s_mov_b32 s8, 0x429ad128
	v_fma_f64 v[5:6], v[5:6], 2.0, -v[0:1]
	v_fma_f64 v[7:8], v[7:8], 2.0, -v[2:3]
	s_mov_b32 s3, 0x3fe948f6
	s_mov_b32 s1, 0x3fac98ee
	v_fma_f64 v[9:10], v[9:10], 2.0, -v[13:14]
	v_fma_f64 v[11:12], v[11:12], 2.0, -v[15:16]
	ds_write_b128 v255, v[5:8]
	ds_write_b128 v255, v[0:3] offset:1088
	ds_write_b128 v255, v[9:12] offset:2176
	;; [unrolled: 1-line block ×3, first 2 shown]
	buffer_load_dword v0, off, s[64:67], 0 offset:260 ; 4-byte Folded Reload
	s_mov_b32 s11, 0x3fe11646
	s_mov_b32 s9, 0xbfebfeb5
	s_mov_b32 s16, 0xaaaaaaaa
	s_mov_b32 s18, 0x5476071b
	s_mov_b32 s22, 0xb247c609
	s_mov_b32 s17, 0xbff2aaaa
	s_mov_b32 s19, 0x3fe77f67
	s_mov_b32 s21, 0xbfe77f67
	s_mov_b32 s20, s18
	s_mov_b32 s23, 0xbfd5d0dc
	s_mov_b32 s27, 0x3fd5d0dc
	s_mov_b32 s26, s22
	s_mov_b32 s24, 0x37c3f68c
	s_mov_b32 s25, 0xbfdc38aa
	v_mul_f64 v[49:50], v[82:83], v[19:20]
	v_mul_f64 v[51:52], v[82:83], v[17:18]
	;; [unrolled: 1-line block ×7, first 2 shown]
	v_fma_f64 v[17:18], v[80:81], v[17:18], v[49:50]
	v_fma_f64 v[19:20], v[80:81], v[19:20], -v[51:52]
	v_mul_f64 v[63:64], v[67:68], v[124:125]
	v_fma_f64 v[29:30], v[132:133], v[29:30], v[53:54]
	v_fma_f64 v[31:32], v[132:133], v[31:32], -v[55:56]
	v_fma_f64 v[33:34], v[75:76], v[33:34], v[57:58]
	v_fma_f64 v[35:36], v[75:76], v[35:36], -v[59:60]
	v_fma_f64 v[49:50], v[65:66], v[124:125], v[61:62]
	v_add_f64 v[17:18], v[21:22], -v[17:18]
	v_add_f64 v[19:20], v[23:24], -v[19:20]
	v_fma_f64 v[51:52], v[65:66], v[126:127], -v[63:64]
	v_add_f64 v[29:30], v[25:26], -v[29:30]
	v_add_f64 v[31:32], v[27:28], -v[31:32]
	;; [unrolled: 1-line block ×5, first 2 shown]
	v_fma_f64 v[21:22], v[21:22], 2.0, -v[17:18]
	v_fma_f64 v[23:24], v[23:24], 2.0, -v[19:20]
	s_waitcnt vmcnt(0)
	ds_write_b128 v0, v[21:24] offset:4352
	ds_write_b128 v0, v[17:20] offset:5440
	buffer_load_dword v0, off, s[64:67], 0 offset:220 ; 4-byte Folded Reload
	v_fma_f64 v[25:26], v[25:26], 2.0, -v[29:30]
	v_fma_f64 v[27:28], v[27:28], 2.0, -v[31:32]
	;; [unrolled: 1-line block ×4, first 2 shown]
	v_add_f64 v[51:52], v[47:48], -v[51:52]
	v_fma_f64 v[45:46], v[45:46], 2.0, -v[49:50]
	v_mul_f64 v[53:54], v[73:74], v[130:131]
	v_mul_f64 v[55:56], v[73:74], v[128:129]
	s_waitcnt vmcnt(0)
	ds_write_b128 v0, v[25:28] offset:6528
	ds_write_b128 v0, v[29:32] offset:7616
	buffer_load_dword v0, off, s[64:67], 0 offset:300 ; 4-byte Folded Reload
	v_fma_f64 v[47:48], v[47:48], 2.0, -v[51:52]
	v_fma_f64 v[53:54], v[71:72], v[128:129], v[53:54]
	v_fma_f64 v[55:56], v[71:72], v[130:131], -v[55:56]
	s_waitcnt vmcnt(0)
	ds_write_b128 v0, v[41:44] offset:8704
	ds_write_b128 v0, v[33:36] offset:9792
	buffer_load_dword v0, off, s[64:67], 0 offset:308 ; 4-byte Folded Reload
	v_add_f64 v[53:54], v[37:38], -v[53:54]
	v_add_f64 v[55:56], v[39:40], -v[55:56]
	s_waitcnt vmcnt(0)
	ds_write_b128 v0, v[45:48] offset:10880
	ds_write_b128 v0, v[49:52] offset:11968
	buffer_load_dword v0, off, s[64:67], 0 offset:316 ; 4-byte Folded Reload
	v_fma_f64 v[37:38], v[37:38], 2.0, -v[53:54]
	v_fma_f64 v[39:40], v[39:40], 2.0, -v[55:56]
	s_waitcnt vmcnt(0)
	ds_write_b128 v0, v[37:40] offset:13056
	ds_write_b128 v0, v[53:56] offset:14144
	s_waitcnt lgkmcnt(0)
	s_barrier
	ds_read_b128 v[0:3], v255
	ds_read_b128 v[5:8], v255 offset:1088
	ds_read_b128 v[9:12], v255 offset:2176
	;; [unrolled: 1-line block ×13, first 2 shown]
	buffer_load_dword v73, off, s[64:67], 0 offset:284 ; 4-byte Folded Reload
	buffer_load_dword v74, off, s[64:67], 0 offset:288 ; 4-byte Folded Reload
	;; [unrolled: 1-line block ×8, first 2 shown]
	s_waitcnt lgkmcnt(11)
	v_mul_f64 v[57:58], v[94:95], v[11:12]
	s_waitcnt lgkmcnt(9)
	v_mul_f64 v[61:62], v[90:91], v[19:20]
	s_waitcnt lgkmcnt(7)
	v_mul_f64 v[65:66], v[86:87], v[27:28]
	v_mul_f64 v[59:60], v[94:95], v[9:10]
	v_mul_f64 v[63:64], v[90:91], v[17:18]
	;; [unrolled: 1-line block ×5, first 2 shown]
	v_fma_f64 v[9:10], v[92:93], v[9:10], v[57:58]
	v_fma_f64 v[17:18], v[88:89], v[17:18], v[61:62]
	;; [unrolled: 1-line block ×3, first 2 shown]
	s_waitcnt lgkmcnt(3)
	v_mul_f64 v[61:62], v[102:103], v[43:44]
	s_waitcnt lgkmcnt(1)
	v_mul_f64 v[65:66], v[98:99], v[51:52]
	v_fma_f64 v[11:12], v[92:93], v[11:12], -v[59:60]
	v_fma_f64 v[19:20], v[88:89], v[19:20], -v[63:64]
	;; [unrolled: 1-line block ×3, first 2 shown]
	v_mul_f64 v[63:64], v[102:103], v[41:42]
	v_mul_f64 v[67:68], v[98:99], v[49:50]
	v_fma_f64 v[41:42], v[100:101], v[41:42], v[61:62]
	v_fma_f64 v[49:50], v[96:97], v[49:50], v[65:66]
	v_mul_f64 v[61:62], v[110:111], v[31:32]
	v_mul_f64 v[65:66], v[106:107], v[39:40]
	v_fma_f64 v[43:44], v[100:101], v[43:44], -v[63:64]
	v_fma_f64 v[51:52], v[96:97], v[51:52], -v[67:68]
	v_mul_f64 v[63:64], v[110:111], v[29:30]
	v_mul_f64 v[67:68], v[106:107], v[37:38]
	v_fma_f64 v[29:30], v[108:109], v[29:30], v[61:62]
	v_fma_f64 v[37:38], v[104:105], v[37:38], v[65:66]
	v_fma_f64 v[31:32], v[108:109], v[31:32], -v[63:64]
	v_fma_f64 v[39:40], v[104:105], v[39:40], -v[67:68]
	s_waitcnt vmcnt(4)
	v_mul_f64 v[57:58], v[75:76], v[35:36]
	v_mul_f64 v[59:60], v[75:76], v[33:34]
	v_fma_f64 v[33:34], v[73:74], v[33:34], v[57:58]
	v_fma_f64 v[57:58], v[116:117], v[13:14], v[69:70]
	v_mul_f64 v[13:14], v[114:115], v[23:24]
	v_fma_f64 v[35:36], v[73:74], v[35:36], -v[59:60]
	v_fma_f64 v[59:60], v[116:117], v[15:16], -v[71:72]
	v_mul_f64 v[15:16], v[114:115], v[21:22]
	v_mul_f64 v[71:72], v[122:123], v[45:46]
	;; [unrolled: 1-line block ×3, first 2 shown]
	v_fma_f64 v[73:74], v[112:113], v[21:22], v[13:14]
	v_add_f64 v[21:22], v[9:10], v[49:50]
	v_add_f64 v[9:10], v[9:10], -v[49:50]
	v_add_f64 v[49:50], v[17:18], v[41:42]
	v_fma_f64 v[75:76], v[112:113], v[23:24], -v[15:16]
	v_add_f64 v[23:24], v[11:12], v[51:52]
	v_add_f64 v[11:12], v[11:12], -v[51:52]
	v_add_f64 v[51:52], v[19:20], v[43:44]
	v_add_f64 v[17:18], v[17:18], -v[41:42]
	v_add_f64 v[19:20], v[19:20], -v[43:44]
	v_add_f64 v[41:42], v[25:26], v[33:34]
	v_add_f64 v[43:44], v[27:28], v[35:36]
	v_add_f64 v[25:26], v[33:34], -v[25:26]
	v_add_f64 v[27:28], v[35:36], -v[27:28]
	v_add_f64 v[33:34], v[49:50], v[21:22]
	v_fma_f64 v[47:48], v[120:121], v[47:48], -v[71:72]
	v_add_f64 v[35:36], v[51:52], v[23:24]
	v_add_f64 v[61:62], v[49:50], -v[21:22]
	v_add_f64 v[63:64], v[51:52], -v[23:24]
	;; [unrolled: 1-line block ×6, first 2 shown]
	v_add_f64 v[67:68], v[27:28], v[19:20]
	v_add_f64 v[71:72], v[27:28], -v[19:20]
	v_add_f64 v[33:34], v[41:42], v[33:34]
	v_add_f64 v[19:20], v[19:20], -v[11:12]
	v_fma_f64 v[45:46], v[120:121], v[45:46], v[69:70]
	v_add_f64 v[65:66], v[25:26], v[17:18]
	v_add_f64 v[69:70], v[25:26], -v[17:18]
	v_add_f64 v[35:36], v[43:44], v[35:36]
	v_add_f64 v[27:28], v[11:12], -v[27:28]
	v_add_f64 v[17:18], v[17:18], -v[9:10]
	v_add_f64 v[11:12], v[67:68], v[11:12]
	v_add_f64 v[0:1], v[0:1], v[33:34]
	v_mul_f64 v[21:22], v[21:22], s[2:3]
	v_mul_f64 v[23:24], v[23:24], s[2:3]
	;; [unrolled: 1-line block ×6, first 2 shown]
	s_waitcnt vmcnt(0) lgkmcnt(0)
	v_mul_f64 v[13:14], v[82:83], v[55:56]
	v_add_f64 v[25:26], v[9:10], -v[25:26]
	v_add_f64 v[9:10], v[65:66], v[9:10]
	v_add_f64 v[2:3], v[2:3], v[35:36]
	v_mul_f64 v[65:66], v[69:70], s[10:11]
	v_mul_f64 v[69:70], v[17:18], s[8:9]
	v_fma_f64 v[33:34], v[33:34], s[16:17], v[0:1]
	v_fma_f64 v[49:50], v[49:50], s[0:1], v[21:22]
	;; [unrolled: 1-line block ×3, first 2 shown]
	v_fma_f64 v[41:42], v[61:62], s[18:19], -v[41:42]
	v_fma_f64 v[43:44], v[63:64], s[18:19], -v[43:44]
	;; [unrolled: 1-line block ×4, first 2 shown]
	v_fma_f64 v[63:64], v[27:28], s[22:23], v[67:68]
	v_fma_f64 v[19:20], v[19:20], s[8:9], -v[67:68]
	v_fma_f64 v[27:28], v[27:28], s[26:27], -v[71:72]
	v_mul_f64 v[15:16], v[82:83], v[53:54]
	v_fma_f64 v[35:36], v[35:36], s[16:17], v[2:3]
	v_fma_f64 v[61:62], v[25:26], s[22:23], v[65:66]
	v_fma_f64 v[17:18], v[17:18], s[8:9], -v[65:66]
	v_fma_f64 v[25:26], v[25:26], s[26:27], -v[69:70]
	v_add_f64 v[49:50], v[49:50], v[33:34]
	v_add_f64 v[41:42], v[41:42], v[33:34]
	;; [unrolled: 1-line block ×3, first 2 shown]
	v_fma_f64 v[27:28], v[11:12], s[24:25], v[27:28]
	v_fma_f64 v[21:22], v[11:12], s[24:25], v[19:20]
	;; [unrolled: 1-line block ×3, first 2 shown]
	v_add_f64 v[51:52], v[51:52], v[35:36]
	v_add_f64 v[43:44], v[43:44], v[35:36]
	;; [unrolled: 1-line block ×3, first 2 shown]
	v_fma_f64 v[65:66], v[9:10], s[24:25], v[25:26]
	v_fma_f64 v[23:24], v[9:10], s[24:25], v[17:18]
	v_fma_f64 v[55:56], v[80:81], v[55:56], -v[15:16]
	v_add_f64 v[13:14], v[27:28], v[33:34]
	v_add_f64 v[17:18], v[41:42], -v[21:22]
	v_add_f64 v[21:22], v[21:22], v[41:42]
	v_add_f64 v[25:26], v[33:34], -v[27:28]
	;; [unrolled: 2-line block ×5, first 2 shown]
	v_add_f64 v[27:28], v[65:66], v[35:36]
	v_add_f64 v[35:36], v[59:60], v[55:56]
	v_add_f64 v[43:44], v[59:60], -v[55:56]
	v_add_f64 v[55:56], v[75:76], v[47:48]
	v_add_f64 v[47:48], v[75:76], -v[47:48]
	v_add_f64 v[57:58], v[29:30], v[37:38]
	v_add_f64 v[59:60], v[31:32], v[39:40]
	v_add_f64 v[29:30], v[37:38], -v[29:30]
	v_add_f64 v[31:32], v[39:40], -v[31:32]
	v_add_f64 v[37:38], v[53:54], v[33:34]
	v_add_f64 v[45:46], v[73:74], -v[45:46]
	v_add_f64 v[65:66], v[53:54], -v[33:34]
	v_add_f64 v[39:40], v[55:56], v[35:36]
	v_add_f64 v[53:54], v[57:58], -v[53:54]
	v_add_f64 v[33:34], v[33:34], -v[57:58]
	v_add_f64 v[67:68], v[55:56], -v[35:36]
	v_add_f64 v[71:72], v[31:32], v[47:48]
	v_add_f64 v[75:76], v[31:32], -v[47:48]
	v_add_f64 v[37:38], v[57:58], v[37:38]
	v_add_f64 v[69:70], v[29:30], v[45:46]
	v_add_f64 v[73:74], v[29:30], -v[45:46]
	v_add_f64 v[31:32], v[43:44], -v[31:32]
	;; [unrolled: 1-line block ×4, first 2 shown]
	v_add_f64 v[43:44], v[71:72], v[43:44]
	v_mul_f64 v[57:58], v[53:54], s[0:1]
	v_add_f64 v[5:6], v[5:6], v[37:38]
	v_mul_f64 v[71:72], v[75:76], s[10:11]
	v_add_f64 v[35:36], v[35:36], -v[59:60]
	v_add_f64 v[55:56], v[59:60], -v[55:56]
	;; [unrolled: 1-line block ×3, first 2 shown]
	v_add_f64 v[41:42], v[69:70], v[41:42]
	v_mul_f64 v[33:34], v[33:34], s[2:3]
	v_mul_f64 v[69:70], v[73:74], s[10:11]
	;; [unrolled: 1-line block ×4, first 2 shown]
	v_fma_f64 v[37:38], v[37:38], s[16:17], v[5:6]
	v_fma_f64 v[57:58], v[65:66], s[18:19], -v[57:58]
	v_fma_f64 v[47:48], v[47:48], s[8:9], -v[71:72]
	v_add_f64 v[39:40], v[59:60], v[39:40]
	v_mul_f64 v[35:36], v[35:36], s[2:3]
	v_mul_f64 v[59:60], v[55:56], s[0:1]
	v_fma_f64 v[53:54], v[53:54], s[0:1], v[33:34]
	v_fma_f64 v[33:34], v[65:66], s[20:21], -v[33:34]
	v_fma_f64 v[65:66], v[29:30], s[22:23], v[69:70]
	v_fma_f64 v[45:46], v[45:46], s[8:9], -v[69:70]
	v_fma_f64 v[29:30], v[29:30], s[26:27], -v[73:74]
	v_add_f64 v[57:58], v[57:58], v[37:38]
	v_fma_f64 v[47:48], v[43:44], s[24:25], v[47:48]
	v_fma_f64 v[55:56], v[55:56], s[0:1], v[35:36]
	v_fma_f64 v[59:60], v[67:68], s[18:19], -v[59:60]
	v_fma_f64 v[35:36], v[67:68], s[20:21], -v[35:36]
	v_fma_f64 v[67:68], v[31:32], s[22:23], v[71:72]
	v_fma_f64 v[31:32], v[31:32], s[26:27], -v[75:76]
	v_fma_f64 v[65:66], v[41:42], s[24:25], v[65:66]
	v_fma_f64 v[75:76], v[41:42], s[24:25], v[29:30]
	;; [unrolled: 1-line block ×3, first 2 shown]
	v_add_f64 v[41:42], v[57:58], -v[47:48]
	v_add_f64 v[45:46], v[47:48], v[57:58]
	buffer_load_dword v57, off, s[64:67], 0 offset:324 ; 4-byte Folded Reload
	v_add_f64 v[7:8], v[7:8], v[39:40]
	v_fma_f64 v[63:64], v[11:12], s[24:25], v[63:64]
	v_fma_f64 v[61:62], v[9:10], s[24:25], v[61:62]
	v_add_f64 v[53:54], v[53:54], v[37:38]
	v_add_f64 v[69:70], v[33:34], v[37:38]
	v_fma_f64 v[67:68], v[43:44], s[24:25], v[67:68]
	v_fma_f64 v[73:74], v[43:44], s[24:25], v[31:32]
	s_and_b64 s[0:1], exec, vcc
	v_fma_f64 v[39:40], v[39:40], s[16:17], v[7:8]
	v_add_f64 v[9:10], v[63:64], v[49:50]
	v_add_f64 v[11:12], v[51:52], -v[61:62]
	v_add_f64 v[29:30], v[49:50], -v[63:64]
	v_add_f64 v[31:32], v[61:62], v[51:52]
	v_add_f64 v[33:34], v[67:68], v[53:54]
	;; [unrolled: 1-line block ×3, first 2 shown]
	v_add_f64 v[49:50], v[69:70], -v[73:74]
	v_add_f64 v[55:56], v[55:56], v[39:40]
	v_add_f64 v[59:60], v[59:60], v[39:40]
	;; [unrolled: 1-line block ×3, first 2 shown]
	v_add_f64 v[53:54], v[53:54], -v[67:68]
	v_add_f64 v[35:36], v[55:56], -v[65:66]
	v_add_f64 v[43:44], v[77:78], v[59:60]
	v_add_f64 v[39:40], v[71:72], -v[75:76]
	v_add_f64 v[47:48], v[59:60], -v[77:78]
	v_add_f64 v[51:52], v[75:76], v[71:72]
	v_add_f64 v[55:56], v[65:66], v[55:56]
	s_waitcnt vmcnt(0)
	ds_write_b128 v57, v[0:3]
	ds_write_b128 v232, v[9:12] offset:2176
	ds_write_b128 v232, v[13:16] offset:4352
	;; [unrolled: 1-line block ×13, first 2 shown]
	s_waitcnt lgkmcnt(0)
	s_barrier
	buffer_load_dword v18, off, s[64:67], 0 offset:12 ; 4-byte Folded Reload
	buffer_load_dword v19, off, s[64:67], 0 offset:16 ; 4-byte Folded Reload
	s_mov_b64 exec, s[0:1]
	s_cbranch_execz .LBB0_23
; %bb.22:
	buffer_load_dword v21, off, s[64:67], 0 offset:4 ; 4-byte Folded Reload
	ds_read_b128 v[4:7], v57
	ds_read_b128 v[8:11], v232 offset:896
	s_waitcnt vmcnt(2)
	v_mad_u64_u32 v[12:13], s[0:1], s6, v18, 0
	v_mad_u64_u32 v[14:15], s[0:1], s4, v79, 0
	s_mul_i32 s3, s5, 0x380
	s_mul_hi_u32 s6, s4, 0x380
	s_waitcnt vmcnt(1)
	v_mad_u64_u32 v[18:19], s[0:1], s7, v18, v[13:14]
	s_mul_i32 s2, s4, 0x380
	s_add_i32 s3, s6, s3
	v_mov_b32_e32 v13, v18
	v_mov_b32_e32 v18, s13
	s_movk_i32 s6, 0x1000
	v_or_b32_e32 v24, 0x1c0, v79
	s_mul_i32 s8, s5, 0x700
	s_movk_i32 s9, 0x2000
	s_waitcnt vmcnt(0)
	global_load_dwordx4 v[0:3], v21, s[12:13]
	s_waitcnt vmcnt(0) lgkmcnt(1)
	v_mul_f64 v[16:17], v[6:7], v[2:3]
	v_mul_f64 v[2:3], v[4:5], v[2:3]
	v_fma_f64 v[4:5], v[4:5], v[0:1], v[16:17]
	v_fma_f64 v[0:1], v[0:1], v[6:7], -v[2:3]
	v_mad_u64_u32 v[19:20], s[0:1], s5, v79, v[15:16]
	s_mov_b32 s0, 0x1135c811
	s_mov_b32 s1, 0x3f5135c8
	v_lshlrev_b64 v[6:7], 4, v[12:13]
	v_mov_b32_e32 v15, v19
	v_mul_f64 v[2:3], v[4:5], s[0:1]
	v_mul_f64 v[4:5], v[0:1], s[0:1]
	v_mov_b32_e32 v16, s15
	v_lshlrev_b64 v[12:13], 4, v[14:15]
	v_add_co_u32_e32 v0, vcc, s14, v6
	v_addc_co_u32_e32 v1, vcc, v16, v7, vcc
	v_add_co_u32_e32 v6, vcc, v0, v12
	v_addc_co_u32_e32 v7, vcc, v1, v13, vcc
	global_store_dwordx4 v[6:7], v[2:5], off
	global_load_dwordx4 v[2:5], v21, s[12:13] offset:896
	v_add_co_u32_e32 v14, vcc, s2, v6
	s_waitcnt vmcnt(0) lgkmcnt(0)
	v_mul_f64 v[12:13], v[10:11], v[4:5]
	v_mul_f64 v[4:5], v[8:9], v[4:5]
	v_fma_f64 v[8:9], v[8:9], v[2:3], v[12:13]
	v_fma_f64 v[4:5], v[2:3], v[10:11], -v[4:5]
	v_mul_f64 v[2:3], v[8:9], s[0:1]
	v_mul_f64 v[4:5], v[4:5], s[0:1]
	v_mov_b32_e32 v8, s3
	v_addc_co_u32_e32 v15, vcc, v7, v8, vcc
	global_store_dwordx4 v[14:15], v[2:5], off
	global_load_dwordx4 v[2:5], v21, s[12:13] offset:1792
	ds_read_b128 v[6:9], v232 offset:1792
	ds_read_b128 v[10:13], v232 offset:2688
	s_waitcnt vmcnt(0) lgkmcnt(1)
	v_mul_f64 v[16:17], v[8:9], v[4:5]
	v_mul_f64 v[4:5], v[6:7], v[4:5]
	v_fma_f64 v[6:7], v[6:7], v[2:3], v[16:17]
	v_fma_f64 v[4:5], v[2:3], v[8:9], -v[4:5]
	v_mul_f64 v[2:3], v[6:7], s[0:1]
	v_mul_f64 v[4:5], v[4:5], s[0:1]
	v_mov_b32_e32 v7, s3
	v_add_co_u32_e32 v6, vcc, s2, v14
	v_addc_co_u32_e32 v7, vcc, v15, v7, vcc
	v_add_co_u32_e32 v14, vcc, s2, v6
	global_store_dwordx4 v[6:7], v[2:5], off
	global_load_dwordx4 v[2:5], v21, s[12:13] offset:2688
	s_waitcnt vmcnt(0) lgkmcnt(0)
	v_mul_f64 v[8:9], v[12:13], v[4:5]
	v_mul_f64 v[4:5], v[10:11], v[4:5]
	v_fma_f64 v[8:9], v[10:11], v[2:3], v[8:9]
	v_fma_f64 v[4:5], v[2:3], v[12:13], -v[4:5]
	v_mul_f64 v[2:3], v[8:9], s[0:1]
	v_mul_f64 v[4:5], v[4:5], s[0:1]
	v_mov_b32_e32 v8, s3
	v_addc_co_u32_e32 v15, vcc, v7, v8, vcc
	v_add_co_u32_e32 v22, vcc, s12, v21
	v_addc_co_u32_e32 v23, vcc, 0, v18, vcc
	global_store_dwordx4 v[14:15], v[2:5], off
	global_load_dwordx4 v[2:5], v21, s[12:13] offset:3584
	ds_read_b128 v[6:9], v232 offset:3584
	ds_read_b128 v[10:13], v232 offset:4480
	s_waitcnt vmcnt(0) lgkmcnt(1)
	v_mul_f64 v[16:17], v[8:9], v[4:5]
	v_mul_f64 v[4:5], v[6:7], v[4:5]
	v_fma_f64 v[6:7], v[6:7], v[2:3], v[16:17]
	v_fma_f64 v[4:5], v[2:3], v[8:9], -v[4:5]
	v_add_co_u32_e32 v16, vcc, s6, v22
	v_addc_co_u32_e32 v17, vcc, 0, v23, vcc
	v_mov_b32_e32 v8, s3
	v_mad_u64_u32 v[20:21], s[6:7], s4, v24, 0
	v_mul_f64 v[2:3], v[6:7], s[0:1]
	v_mul_f64 v[4:5], v[4:5], s[0:1]
	v_add_co_u32_e32 v6, vcc, s2, v14
	v_addc_co_u32_e32 v7, vcc, v15, v8, vcc
	v_add_co_u32_e32 v14, vcc, s2, v6
	global_store_dwordx4 v[6:7], v[2:5], off
	global_load_dwordx4 v[2:5], v[16:17], off offset:384
	s_waitcnt vmcnt(0) lgkmcnt(0)
	v_mul_f64 v[8:9], v[12:13], v[4:5]
	v_mul_f64 v[4:5], v[10:11], v[4:5]
	v_fma_f64 v[8:9], v[10:11], v[2:3], v[8:9]
	v_fma_f64 v[4:5], v[2:3], v[12:13], -v[4:5]
	v_mul_f64 v[2:3], v[8:9], s[0:1]
	v_mul_f64 v[4:5], v[4:5], s[0:1]
	v_mov_b32_e32 v8, s3
	v_addc_co_u32_e32 v15, vcc, v7, v8, vcc
	global_store_dwordx4 v[14:15], v[2:5], off
	global_load_dwordx4 v[2:5], v[16:17], off offset:1280
	ds_read_b128 v[6:9], v232 offset:5376
	ds_read_b128 v[10:13], v232 offset:6272
	s_waitcnt vmcnt(0) lgkmcnt(1)
	v_mul_f64 v[18:19], v[8:9], v[4:5]
	v_mul_f64 v[4:5], v[6:7], v[4:5]
	v_fma_f64 v[6:7], v[6:7], v[2:3], v[18:19]
	v_fma_f64 v[4:5], v[2:3], v[8:9], -v[4:5]
	v_mul_f64 v[2:3], v[6:7], s[0:1]
	v_mul_f64 v[4:5], v[4:5], s[0:1]
	v_mov_b32_e32 v7, s3
	v_add_co_u32_e32 v6, vcc, s2, v14
	v_addc_co_u32_e32 v7, vcc, v15, v7, vcc
	v_add_co_u32_e32 v14, vcc, s2, v6
	global_store_dwordx4 v[6:7], v[2:5], off
	global_load_dwordx4 v[2:5], v[16:17], off offset:2176
	s_waitcnt vmcnt(0) lgkmcnt(0)
	v_mul_f64 v[8:9], v[12:13], v[4:5]
	v_mul_f64 v[4:5], v[10:11], v[4:5]
	v_fma_f64 v[8:9], v[10:11], v[2:3], v[8:9]
	v_fma_f64 v[4:5], v[2:3], v[12:13], -v[4:5]
	v_mul_f64 v[2:3], v[8:9], s[0:1]
	v_mul_f64 v[4:5], v[4:5], s[0:1]
	v_mov_b32_e32 v9, s3
	v_addc_co_u32_e32 v15, vcc, v7, v9, vcc
	v_lshlrev_b32_e32 v8, 4, v24
	global_store_dwordx4 v[14:15], v[2:5], off
	global_load_dwordx4 v[2:5], v8, s[12:13]
	ds_read_b128 v[6:9], v232 offset:7168
	ds_read_b128 v[10:13], v232 offset:8064
	s_waitcnt vmcnt(0) lgkmcnt(1)
	v_mul_f64 v[18:19], v[8:9], v[4:5]
	v_mul_f64 v[4:5], v[6:7], v[4:5]
	v_fma_f64 v[6:7], v[6:7], v[2:3], v[18:19]
	v_fma_f64 v[4:5], v[2:3], v[8:9], -v[4:5]
	v_mov_b32_e32 v2, v21
	v_mad_u64_u32 v[8:9], s[6:7], s5, v24, v[2:3]
	v_mov_b32_e32 v21, v8
	v_mul_f64 v[2:3], v[6:7], s[0:1]
	v_mul_f64 v[4:5], v[4:5], s[0:1]
	v_lshlrev_b64 v[6:7], 4, v[20:21]
	v_mov_b32_e32 v8, 0x700
	v_add_co_u32_e32 v6, vcc, v0, v6
	v_addc_co_u32_e32 v7, vcc, v1, v7, vcc
	v_mad_u64_u32 v[14:15], s[6:7], s4, v8, v[14:15]
	global_store_dwordx4 v[6:7], v[2:5], off
	global_load_dwordx4 v[2:5], v[16:17], off offset:3968
	v_add_co_u32_e32 v16, vcc, s9, v22
	v_add_u32_e32 v15, s8, v15
	v_addc_co_u32_e32 v17, vcc, 0, v23, vcc
	s_movk_i32 s6, 0x3000
	s_waitcnt vmcnt(0) lgkmcnt(0)
	v_mul_f64 v[6:7], v[12:13], v[4:5]
	v_mul_f64 v[4:5], v[10:11], v[4:5]
	v_fma_f64 v[6:7], v[10:11], v[2:3], v[6:7]
	v_fma_f64 v[4:5], v[2:3], v[12:13], -v[4:5]
	v_mul_f64 v[2:3], v[6:7], s[0:1]
	v_mul_f64 v[4:5], v[4:5], s[0:1]
	global_store_dwordx4 v[14:15], v[2:5], off
	global_load_dwordx4 v[2:5], v[16:17], off offset:768
	ds_read_b128 v[6:9], v232 offset:8960
	ds_read_b128 v[10:13], v232 offset:9856
	s_waitcnt vmcnt(0) lgkmcnt(1)
	v_mul_f64 v[18:19], v[8:9], v[4:5]
	v_mul_f64 v[4:5], v[6:7], v[4:5]
	v_fma_f64 v[6:7], v[6:7], v[2:3], v[18:19]
	v_fma_f64 v[4:5], v[2:3], v[8:9], -v[4:5]
	v_mul_f64 v[2:3], v[6:7], s[0:1]
	v_mul_f64 v[4:5], v[4:5], s[0:1]
	v_mov_b32_e32 v7, s3
	v_add_co_u32_e32 v6, vcc, s2, v14
	v_addc_co_u32_e32 v7, vcc, v15, v7, vcc
	v_add_co_u32_e32 v14, vcc, s2, v6
	global_store_dwordx4 v[6:7], v[2:5], off
	global_load_dwordx4 v[2:5], v[16:17], off offset:1664
	s_waitcnt vmcnt(0) lgkmcnt(0)
	v_mul_f64 v[8:9], v[12:13], v[4:5]
	v_mul_f64 v[4:5], v[10:11], v[4:5]
	v_fma_f64 v[8:9], v[10:11], v[2:3], v[8:9]
	v_fma_f64 v[4:5], v[2:3], v[12:13], -v[4:5]
	v_mul_f64 v[2:3], v[8:9], s[0:1]
	v_mul_f64 v[4:5], v[4:5], s[0:1]
	v_mov_b32_e32 v8, s3
	v_addc_co_u32_e32 v15, vcc, v7, v8, vcc
	global_store_dwordx4 v[14:15], v[2:5], off
	global_load_dwordx4 v[2:5], v[16:17], off offset:2560
	ds_read_b128 v[6:9], v232 offset:10752
	ds_read_b128 v[10:13], v232 offset:11648
	s_waitcnt vmcnt(0) lgkmcnt(1)
	v_mul_f64 v[18:19], v[8:9], v[4:5]
	v_mul_f64 v[4:5], v[6:7], v[4:5]
	v_fma_f64 v[6:7], v[6:7], v[2:3], v[18:19]
	v_fma_f64 v[4:5], v[2:3], v[8:9], -v[4:5]
	v_mul_f64 v[2:3], v[6:7], s[0:1]
	v_mul_f64 v[4:5], v[4:5], s[0:1]
	v_mov_b32_e32 v7, s3
	v_add_co_u32_e32 v6, vcc, s2, v14
	v_addc_co_u32_e32 v7, vcc, v15, v7, vcc
	v_add_co_u32_e32 v14, vcc, s6, v22
	global_store_dwordx4 v[6:7], v[2:5], off
	global_load_dwordx4 v[2:5], v[16:17], off offset:3456
	v_addc_co_u32_e32 v15, vcc, 0, v23, vcc
	v_add_co_u32_e32 v16, vcc, s2, v6
	s_waitcnt vmcnt(0) lgkmcnt(0)
	v_mul_f64 v[8:9], v[12:13], v[4:5]
	v_mul_f64 v[4:5], v[10:11], v[4:5]
	v_fma_f64 v[8:9], v[10:11], v[2:3], v[8:9]
	v_fma_f64 v[4:5], v[2:3], v[12:13], -v[4:5]
	v_mov_b32_e32 v10, s3
	v_addc_co_u32_e32 v17, vcc, v7, v10, vcc
	v_mul_f64 v[2:3], v[8:9], s[0:1]
	v_mul_f64 v[4:5], v[4:5], s[0:1]
	global_store_dwordx4 v[16:17], v[2:5], off
	global_load_dwordx4 v[2:5], v[14:15], off offset:256
	ds_read_b128 v[6:9], v232 offset:12544
	ds_read_b128 v[10:13], v232 offset:13440
	s_waitcnt vmcnt(0) lgkmcnt(1)
	v_mul_f64 v[18:19], v[8:9], v[4:5]
	v_mul_f64 v[4:5], v[6:7], v[4:5]
	v_fma_f64 v[6:7], v[6:7], v[2:3], v[18:19]
	v_fma_f64 v[4:5], v[2:3], v[8:9], -v[4:5]
	v_mul_f64 v[2:3], v[6:7], s[0:1]
	v_mul_f64 v[4:5], v[4:5], s[0:1]
	v_mov_b32_e32 v7, s3
	v_add_co_u32_e32 v6, vcc, s2, v16
	v_addc_co_u32_e32 v7, vcc, v17, v7, vcc
	global_store_dwordx4 v[6:7], v[2:5], off
	global_load_dwordx4 v[2:5], v[14:15], off offset:1152
	v_add_co_u32_e32 v6, vcc, s2, v6
	s_waitcnt vmcnt(0) lgkmcnt(0)
	v_mul_f64 v[8:9], v[12:13], v[4:5]
	v_mul_f64 v[4:5], v[10:11], v[4:5]
	v_fma_f64 v[8:9], v[10:11], v[2:3], v[8:9]
	v_fma_f64 v[4:5], v[2:3], v[12:13], -v[4:5]
	v_or_b32_e32 v12, 0x380, v79
	v_mul_f64 v[2:3], v[8:9], s[0:1]
	v_mul_f64 v[4:5], v[4:5], s[0:1]
	v_mov_b32_e32 v9, s3
	v_addc_co_u32_e32 v7, vcc, v7, v9, vcc
	v_lshlrev_b32_e32 v8, 4, v12
	global_store_dwordx4 v[6:7], v[2:5], off
	global_load_dwordx4 v[2:5], v8, s[12:13]
	ds_read_b128 v[6:9], v232 offset:14336
	s_waitcnt vmcnt(0) lgkmcnt(0)
	v_mul_f64 v[10:11], v[8:9], v[4:5]
	v_mul_f64 v[4:5], v[6:7], v[4:5]
	v_fma_f64 v[6:7], v[6:7], v[2:3], v[10:11]
	v_fma_f64 v[4:5], v[2:3], v[8:9], -v[4:5]
	v_mad_u64_u32 v[8:9], s[2:3], s4, v12, 0
	v_mov_b32_e32 v2, v9
	v_mad_u64_u32 v[9:10], s[2:3], s5, v12, v[2:3]
	v_mul_f64 v[2:3], v[6:7], s[0:1]
	v_mul_f64 v[4:5], v[4:5], s[0:1]
	v_lshlrev_b64 v[6:7], 4, v[8:9]
	v_add_co_u32_e32 v0, vcc, v0, v6
	v_addc_co_u32_e32 v1, vcc, v1, v7, vcc
	global_store_dwordx4 v[0:1], v[2:5], off
.LBB0_23:
	s_endpgm
	.section	.rodata,"a",@progbits
	.p2align	6, 0x0
	.amdhsa_kernel bluestein_single_back_len952_dim1_dp_op_CI_CI
		.amdhsa_group_segment_fixed_size 45696
		.amdhsa_private_segment_fixed_size 912
		.amdhsa_kernarg_size 104
		.amdhsa_user_sgpr_count 6
		.amdhsa_user_sgpr_private_segment_buffer 1
		.amdhsa_user_sgpr_dispatch_ptr 0
		.amdhsa_user_sgpr_queue_ptr 0
		.amdhsa_user_sgpr_kernarg_segment_ptr 1
		.amdhsa_user_sgpr_dispatch_id 0
		.amdhsa_user_sgpr_flat_scratch_init 0
		.amdhsa_user_sgpr_private_segment_size 0
		.amdhsa_uses_dynamic_stack 0
		.amdhsa_system_sgpr_private_segment_wavefront_offset 1
		.amdhsa_system_sgpr_workgroup_id_x 1
		.amdhsa_system_sgpr_workgroup_id_y 0
		.amdhsa_system_sgpr_workgroup_id_z 0
		.amdhsa_system_sgpr_workgroup_info 0
		.amdhsa_system_vgpr_workitem_id 0
		.amdhsa_next_free_vgpr 256
		.amdhsa_next_free_sgpr 68
		.amdhsa_reserve_vcc 1
		.amdhsa_reserve_flat_scratch 0
		.amdhsa_float_round_mode_32 0
		.amdhsa_float_round_mode_16_64 0
		.amdhsa_float_denorm_mode_32 3
		.amdhsa_float_denorm_mode_16_64 3
		.amdhsa_dx10_clamp 1
		.amdhsa_ieee_mode 1
		.amdhsa_fp16_overflow 0
		.amdhsa_exception_fp_ieee_invalid_op 0
		.amdhsa_exception_fp_denorm_src 0
		.amdhsa_exception_fp_ieee_div_zero 0
		.amdhsa_exception_fp_ieee_overflow 0
		.amdhsa_exception_fp_ieee_underflow 0
		.amdhsa_exception_fp_ieee_inexact 0
		.amdhsa_exception_int_div_zero 0
	.end_amdhsa_kernel
	.text
.Lfunc_end0:
	.size	bluestein_single_back_len952_dim1_dp_op_CI_CI, .Lfunc_end0-bluestein_single_back_len952_dim1_dp_op_CI_CI
                                        ; -- End function
	.section	.AMDGPU.csdata,"",@progbits
; Kernel info:
; codeLenInByte = 33820
; NumSgprs: 72
; NumVgprs: 256
; ScratchSize: 912
; MemoryBound: 0
; FloatMode: 240
; IeeeMode: 1
; LDSByteSize: 45696 bytes/workgroup (compile time only)
; SGPRBlocks: 8
; VGPRBlocks: 63
; NumSGPRsForWavesPerEU: 72
; NumVGPRsForWavesPerEU: 256
; Occupancy: 1
; WaveLimiterHint : 1
; COMPUTE_PGM_RSRC2:SCRATCH_EN: 1
; COMPUTE_PGM_RSRC2:USER_SGPR: 6
; COMPUTE_PGM_RSRC2:TRAP_HANDLER: 0
; COMPUTE_PGM_RSRC2:TGID_X_EN: 1
; COMPUTE_PGM_RSRC2:TGID_Y_EN: 0
; COMPUTE_PGM_RSRC2:TGID_Z_EN: 0
; COMPUTE_PGM_RSRC2:TIDIG_COMP_CNT: 0
	.type	__hip_cuid_f6acb01acaa9f2d4,@object ; @__hip_cuid_f6acb01acaa9f2d4
	.section	.bss,"aw",@nobits
	.globl	__hip_cuid_f6acb01acaa9f2d4
__hip_cuid_f6acb01acaa9f2d4:
	.byte	0                               ; 0x0
	.size	__hip_cuid_f6acb01acaa9f2d4, 1

	.ident	"AMD clang version 19.0.0git (https://github.com/RadeonOpenCompute/llvm-project roc-6.4.0 25133 c7fe45cf4b819c5991fe208aaa96edf142730f1d)"
	.section	".note.GNU-stack","",@progbits
	.addrsig
	.addrsig_sym __hip_cuid_f6acb01acaa9f2d4
	.amdgpu_metadata
---
amdhsa.kernels:
  - .args:
      - .actual_access:  read_only
        .address_space:  global
        .offset:         0
        .size:           8
        .value_kind:     global_buffer
      - .actual_access:  read_only
        .address_space:  global
        .offset:         8
        .size:           8
        .value_kind:     global_buffer
      - .actual_access:  read_only
        .address_space:  global
        .offset:         16
        .size:           8
        .value_kind:     global_buffer
      - .actual_access:  read_only
        .address_space:  global
        .offset:         24
        .size:           8
        .value_kind:     global_buffer
      - .actual_access:  read_only
        .address_space:  global
        .offset:         32
        .size:           8
        .value_kind:     global_buffer
      - .offset:         40
        .size:           8
        .value_kind:     by_value
      - .address_space:  global
        .offset:         48
        .size:           8
        .value_kind:     global_buffer
      - .address_space:  global
        .offset:         56
        .size:           8
        .value_kind:     global_buffer
      - .address_space:  global
        .offset:         64
        .size:           8
        .value_kind:     global_buffer
      - .address_space:  global
        .offset:         72
        .size:           8
        .value_kind:     global_buffer
      - .offset:         80
        .size:           4
        .value_kind:     by_value
      - .address_space:  global
        .offset:         88
        .size:           8
        .value_kind:     global_buffer
      - .address_space:  global
        .offset:         96
        .size:           8
        .value_kind:     global_buffer
    .group_segment_fixed_size: 45696
    .kernarg_segment_align: 8
    .kernarg_segment_size: 104
    .language:       OpenCL C
    .language_version:
      - 2
      - 0
    .max_flat_workgroup_size: 204
    .name:           bluestein_single_back_len952_dim1_dp_op_CI_CI
    .private_segment_fixed_size: 912
    .sgpr_count:     72
    .sgpr_spill_count: 0
    .symbol:         bluestein_single_back_len952_dim1_dp_op_CI_CI.kd
    .uniform_work_group_size: 1
    .uses_dynamic_stack: false
    .vgpr_count:     256
    .vgpr_spill_count: 318
    .wavefront_size: 64
amdhsa.target:   amdgcn-amd-amdhsa--gfx906
amdhsa.version:
  - 1
  - 2
...

	.end_amdgpu_metadata
